;; amdgpu-corpus repo=ROCm/rocFFT kind=compiled arch=gfx1100 opt=O3
	.text
	.amdgcn_target "amdgcn-amd-amdhsa--gfx1100"
	.amdhsa_code_object_version 6
	.protected	fft_rtc_fwd_len3750_factors_3_5_5_10_5_wgs_125_tpt_125_halfLds_dp_op_CI_CI_unitstride_sbrr_dirReg ; -- Begin function fft_rtc_fwd_len3750_factors_3_5_5_10_5_wgs_125_tpt_125_halfLds_dp_op_CI_CI_unitstride_sbrr_dirReg
	.globl	fft_rtc_fwd_len3750_factors_3_5_5_10_5_wgs_125_tpt_125_halfLds_dp_op_CI_CI_unitstride_sbrr_dirReg
	.p2align	8
	.type	fft_rtc_fwd_len3750_factors_3_5_5_10_5_wgs_125_tpt_125_halfLds_dp_op_CI_CI_unitstride_sbrr_dirReg,@function
fft_rtc_fwd_len3750_factors_3_5_5_10_5_wgs_125_tpt_125_halfLds_dp_op_CI_CI_unitstride_sbrr_dirReg: ; @fft_rtc_fwd_len3750_factors_3_5_5_10_5_wgs_125_tpt_125_halfLds_dp_op_CI_CI_unitstride_sbrr_dirReg
; %bb.0:
	s_clause 0x2
	s_load_b128 s[8:11], s[0:1], 0x0
	s_load_b128 s[4:7], s[0:1], 0x58
	;; [unrolled: 1-line block ×3, first 2 shown]
	v_mul_u32_u24_e32 v1, 0x20d, v0
	v_mov_b32_e32 v3, 0
	s_delay_alu instid0(VALU_DEP_2) | instskip(NEXT) | instid1(VALU_DEP_1)
	v_lshrrev_b32_e32 v1, 16, v1
	v_add_nc_u32_e32 v5, s15, v1
	v_mov_b32_e32 v1, 0
	v_mov_b32_e32 v2, 0
	;; [unrolled: 1-line block ×3, first 2 shown]
	s_waitcnt lgkmcnt(0)
	v_cmp_lt_u64_e64 s2, s[10:11], 2
	s_delay_alu instid0(VALU_DEP_1)
	s_and_b32 vcc_lo, exec_lo, s2
	s_cbranch_vccnz .LBB0_8
; %bb.1:
	s_load_b64 s[2:3], s[0:1], 0x10
	v_mov_b32_e32 v1, 0
	v_mov_b32_e32 v2, 0
	s_add_u32 s12, s18, 8
	s_addc_u32 s13, s19, 0
	s_add_u32 s14, s16, 8
	s_addc_u32 s15, s17, 0
	v_dual_mov_b32 v181, v2 :: v_dual_mov_b32 v180, v1
	s_mov_b64 s[22:23], 1
	s_waitcnt lgkmcnt(0)
	s_add_u32 s20, s2, 8
	s_addc_u32 s21, s3, 0
.LBB0_2:                                ; =>This Inner Loop Header: Depth=1
	s_load_b64 s[24:25], s[20:21], 0x0
                                        ; implicit-def: $vgpr160_vgpr161
	s_mov_b32 s2, exec_lo
	s_waitcnt lgkmcnt(0)
	v_or_b32_e32 v4, s25, v6
	s_delay_alu instid0(VALU_DEP_1)
	v_cmpx_ne_u64_e32 0, v[3:4]
	s_xor_b32 s3, exec_lo, s2
	s_cbranch_execz .LBB0_4
; %bb.3:                                ;   in Loop: Header=BB0_2 Depth=1
	v_cvt_f32_u32_e32 v4, s24
	v_cvt_f32_u32_e32 v7, s25
	s_sub_u32 s2, 0, s24
	s_subb_u32 s26, 0, s25
	s_delay_alu instid0(VALU_DEP_1) | instskip(NEXT) | instid1(VALU_DEP_1)
	v_fmac_f32_e32 v4, 0x4f800000, v7
	v_rcp_f32_e32 v4, v4
	s_waitcnt_depctr 0xfff
	v_mul_f32_e32 v4, 0x5f7ffffc, v4
	s_delay_alu instid0(VALU_DEP_1) | instskip(NEXT) | instid1(VALU_DEP_1)
	v_mul_f32_e32 v7, 0x2f800000, v4
	v_trunc_f32_e32 v7, v7
	s_delay_alu instid0(VALU_DEP_1) | instskip(SKIP_1) | instid1(VALU_DEP_2)
	v_fmac_f32_e32 v4, 0xcf800000, v7
	v_cvt_u32_f32_e32 v7, v7
	v_cvt_u32_f32_e32 v4, v4
	s_delay_alu instid0(VALU_DEP_2) | instskip(NEXT) | instid1(VALU_DEP_2)
	v_mul_lo_u32 v8, s2, v7
	v_mul_hi_u32 v9, s2, v4
	v_mul_lo_u32 v10, s26, v4
	s_delay_alu instid0(VALU_DEP_2) | instskip(SKIP_1) | instid1(VALU_DEP_2)
	v_add_nc_u32_e32 v8, v9, v8
	v_mul_lo_u32 v9, s2, v4
	v_add_nc_u32_e32 v8, v8, v10
	s_delay_alu instid0(VALU_DEP_2) | instskip(NEXT) | instid1(VALU_DEP_2)
	v_mul_hi_u32 v10, v4, v9
	v_mul_lo_u32 v11, v4, v8
	v_mul_hi_u32 v12, v4, v8
	v_mul_hi_u32 v13, v7, v9
	v_mul_lo_u32 v9, v7, v9
	v_mul_hi_u32 v14, v7, v8
	v_mul_lo_u32 v8, v7, v8
	v_add_co_u32 v10, vcc_lo, v10, v11
	v_add_co_ci_u32_e32 v11, vcc_lo, 0, v12, vcc_lo
	s_delay_alu instid0(VALU_DEP_2) | instskip(NEXT) | instid1(VALU_DEP_2)
	v_add_co_u32 v9, vcc_lo, v10, v9
	v_add_co_ci_u32_e32 v9, vcc_lo, v11, v13, vcc_lo
	v_add_co_ci_u32_e32 v10, vcc_lo, 0, v14, vcc_lo
	s_delay_alu instid0(VALU_DEP_2) | instskip(NEXT) | instid1(VALU_DEP_2)
	v_add_co_u32 v8, vcc_lo, v9, v8
	v_add_co_ci_u32_e32 v9, vcc_lo, 0, v10, vcc_lo
	s_delay_alu instid0(VALU_DEP_2) | instskip(NEXT) | instid1(VALU_DEP_2)
	v_add_co_u32 v4, vcc_lo, v4, v8
	v_add_co_ci_u32_e32 v7, vcc_lo, v7, v9, vcc_lo
	s_delay_alu instid0(VALU_DEP_2) | instskip(SKIP_1) | instid1(VALU_DEP_3)
	v_mul_hi_u32 v8, s2, v4
	v_mul_lo_u32 v10, s26, v4
	v_mul_lo_u32 v9, s2, v7
	s_delay_alu instid0(VALU_DEP_1) | instskip(SKIP_1) | instid1(VALU_DEP_2)
	v_add_nc_u32_e32 v8, v8, v9
	v_mul_lo_u32 v9, s2, v4
	v_add_nc_u32_e32 v8, v8, v10
	s_delay_alu instid0(VALU_DEP_2) | instskip(NEXT) | instid1(VALU_DEP_2)
	v_mul_hi_u32 v10, v4, v9
	v_mul_lo_u32 v11, v4, v8
	v_mul_hi_u32 v12, v4, v8
	v_mul_hi_u32 v13, v7, v9
	v_mul_lo_u32 v9, v7, v9
	v_mul_hi_u32 v14, v7, v8
	v_mul_lo_u32 v8, v7, v8
	v_add_co_u32 v10, vcc_lo, v10, v11
	v_add_co_ci_u32_e32 v11, vcc_lo, 0, v12, vcc_lo
	s_delay_alu instid0(VALU_DEP_2) | instskip(NEXT) | instid1(VALU_DEP_2)
	v_add_co_u32 v9, vcc_lo, v10, v9
	v_add_co_ci_u32_e32 v9, vcc_lo, v11, v13, vcc_lo
	v_add_co_ci_u32_e32 v10, vcc_lo, 0, v14, vcc_lo
	s_delay_alu instid0(VALU_DEP_2) | instskip(NEXT) | instid1(VALU_DEP_2)
	v_add_co_u32 v8, vcc_lo, v9, v8
	v_add_co_ci_u32_e32 v9, vcc_lo, 0, v10, vcc_lo
	s_delay_alu instid0(VALU_DEP_2) | instskip(NEXT) | instid1(VALU_DEP_2)
	v_add_co_u32 v4, vcc_lo, v4, v8
	v_add_co_ci_u32_e32 v13, vcc_lo, v7, v9, vcc_lo
	s_delay_alu instid0(VALU_DEP_2) | instskip(SKIP_1) | instid1(VALU_DEP_3)
	v_mul_hi_u32 v14, v5, v4
	v_mad_u64_u32 v[9:10], null, v6, v4, 0
	v_mad_u64_u32 v[7:8], null, v5, v13, 0
	;; [unrolled: 1-line block ×3, first 2 shown]
	s_delay_alu instid0(VALU_DEP_2) | instskip(NEXT) | instid1(VALU_DEP_3)
	v_add_co_u32 v4, vcc_lo, v14, v7
	v_add_co_ci_u32_e32 v7, vcc_lo, 0, v8, vcc_lo
	s_delay_alu instid0(VALU_DEP_2) | instskip(NEXT) | instid1(VALU_DEP_2)
	v_add_co_u32 v4, vcc_lo, v4, v9
	v_add_co_ci_u32_e32 v4, vcc_lo, v7, v10, vcc_lo
	v_add_co_ci_u32_e32 v7, vcc_lo, 0, v12, vcc_lo
	s_delay_alu instid0(VALU_DEP_2) | instskip(NEXT) | instid1(VALU_DEP_2)
	v_add_co_u32 v4, vcc_lo, v4, v11
	v_add_co_ci_u32_e32 v9, vcc_lo, 0, v7, vcc_lo
	s_delay_alu instid0(VALU_DEP_2) | instskip(SKIP_1) | instid1(VALU_DEP_3)
	v_mul_lo_u32 v10, s25, v4
	v_mad_u64_u32 v[7:8], null, s24, v4, 0
	v_mul_lo_u32 v11, s24, v9
	s_delay_alu instid0(VALU_DEP_2) | instskip(NEXT) | instid1(VALU_DEP_2)
	v_sub_co_u32 v7, vcc_lo, v5, v7
	v_add3_u32 v8, v8, v11, v10
	s_delay_alu instid0(VALU_DEP_1) | instskip(NEXT) | instid1(VALU_DEP_1)
	v_sub_nc_u32_e32 v10, v6, v8
	v_subrev_co_ci_u32_e64 v10, s2, s25, v10, vcc_lo
	v_add_co_u32 v11, s2, v4, 2
	s_delay_alu instid0(VALU_DEP_1) | instskip(SKIP_3) | instid1(VALU_DEP_3)
	v_add_co_ci_u32_e64 v12, s2, 0, v9, s2
	v_sub_co_u32 v13, s2, v7, s24
	v_sub_co_ci_u32_e32 v8, vcc_lo, v6, v8, vcc_lo
	v_subrev_co_ci_u32_e64 v10, s2, 0, v10, s2
	v_cmp_le_u32_e32 vcc_lo, s24, v13
	s_delay_alu instid0(VALU_DEP_3) | instskip(SKIP_1) | instid1(VALU_DEP_4)
	v_cmp_eq_u32_e64 s2, s25, v8
	v_cndmask_b32_e64 v13, 0, -1, vcc_lo
	v_cmp_le_u32_e32 vcc_lo, s25, v10
	v_cndmask_b32_e64 v14, 0, -1, vcc_lo
	v_cmp_le_u32_e32 vcc_lo, s24, v7
	;; [unrolled: 2-line block ×3, first 2 shown]
	v_cndmask_b32_e64 v15, 0, -1, vcc_lo
	v_cmp_eq_u32_e32 vcc_lo, s25, v10
	s_delay_alu instid0(VALU_DEP_2) | instskip(SKIP_3) | instid1(VALU_DEP_3)
	v_cndmask_b32_e64 v7, v15, v7, s2
	v_cndmask_b32_e32 v10, v14, v13, vcc_lo
	v_add_co_u32 v13, vcc_lo, v4, 1
	v_add_co_ci_u32_e32 v14, vcc_lo, 0, v9, vcc_lo
	v_cmp_ne_u32_e32 vcc_lo, 0, v10
	s_delay_alu instid0(VALU_DEP_2) | instskip(NEXT) | instid1(VALU_DEP_4)
	v_cndmask_b32_e32 v8, v14, v12, vcc_lo
	v_cndmask_b32_e32 v10, v13, v11, vcc_lo
	v_cmp_ne_u32_e32 vcc_lo, 0, v7
	s_delay_alu instid0(VALU_DEP_2)
	v_dual_cndmask_b32 v161, v9, v8 :: v_dual_cndmask_b32 v160, v4, v10
.LBB0_4:                                ;   in Loop: Header=BB0_2 Depth=1
	s_and_not1_saveexec_b32 s2, s3
	s_cbranch_execz .LBB0_6
; %bb.5:                                ;   in Loop: Header=BB0_2 Depth=1
	v_cvt_f32_u32_e32 v4, s24
	s_sub_i32 s3, 0, s24
	v_mov_b32_e32 v161, v3
	s_delay_alu instid0(VALU_DEP_2) | instskip(SKIP_2) | instid1(VALU_DEP_1)
	v_rcp_iflag_f32_e32 v4, v4
	s_waitcnt_depctr 0xfff
	v_mul_f32_e32 v4, 0x4f7ffffe, v4
	v_cvt_u32_f32_e32 v4, v4
	s_delay_alu instid0(VALU_DEP_1) | instskip(NEXT) | instid1(VALU_DEP_1)
	v_mul_lo_u32 v7, s3, v4
	v_mul_hi_u32 v7, v4, v7
	s_delay_alu instid0(VALU_DEP_1) | instskip(NEXT) | instid1(VALU_DEP_1)
	v_add_nc_u32_e32 v4, v4, v7
	v_mul_hi_u32 v4, v5, v4
	s_delay_alu instid0(VALU_DEP_1) | instskip(SKIP_1) | instid1(VALU_DEP_2)
	v_mul_lo_u32 v7, v4, s24
	v_add_nc_u32_e32 v8, 1, v4
	v_sub_nc_u32_e32 v7, v5, v7
	s_delay_alu instid0(VALU_DEP_1) | instskip(SKIP_1) | instid1(VALU_DEP_2)
	v_subrev_nc_u32_e32 v9, s24, v7
	v_cmp_le_u32_e32 vcc_lo, s24, v7
	v_dual_cndmask_b32 v7, v7, v9 :: v_dual_cndmask_b32 v4, v4, v8
	s_delay_alu instid0(VALU_DEP_1) | instskip(NEXT) | instid1(VALU_DEP_2)
	v_cmp_le_u32_e32 vcc_lo, s24, v7
	v_add_nc_u32_e32 v8, 1, v4
	s_delay_alu instid0(VALU_DEP_1)
	v_cndmask_b32_e32 v160, v4, v8, vcc_lo
.LBB0_6:                                ;   in Loop: Header=BB0_2 Depth=1
	s_or_b32 exec_lo, exec_lo, s2
	s_delay_alu instid0(VALU_DEP_1) | instskip(NEXT) | instid1(VALU_DEP_2)
	v_mul_lo_u32 v4, v161, s24
	v_mul_lo_u32 v9, v160, s25
	s_load_b64 s[2:3], s[14:15], 0x0
	v_mad_u64_u32 v[7:8], null, v160, s24, 0
	s_load_b64 s[24:25], s[12:13], 0x0
	s_add_u32 s22, s22, 1
	s_addc_u32 s23, s23, 0
	s_add_u32 s12, s12, 8
	s_addc_u32 s13, s13, 0
	s_add_u32 s14, s14, 8
	s_delay_alu instid0(VALU_DEP_1) | instskip(SKIP_3) | instid1(VALU_DEP_2)
	v_add3_u32 v4, v8, v9, v4
	v_sub_co_u32 v8, vcc_lo, v5, v7
	s_addc_u32 s15, s15, 0
	s_add_u32 s20, s20, 8
	v_sub_co_ci_u32_e32 v6, vcc_lo, v6, v4, vcc_lo
	s_addc_u32 s21, s21, 0
	s_waitcnt lgkmcnt(0)
	s_delay_alu instid0(VALU_DEP_1)
	v_mul_lo_u32 v9, s2, v6
	v_mul_lo_u32 v10, s3, v8
	v_mad_u64_u32 v[4:5], null, s2, v8, v[1:2]
	v_mul_lo_u32 v11, s24, v6
	v_mul_lo_u32 v12, s25, v8
	v_mad_u64_u32 v[6:7], null, s24, v8, v[180:181]
	v_cmp_ge_u64_e64 s2, s[22:23], s[10:11]
	v_add3_u32 v2, v10, v5, v9
	s_delay_alu instid0(VALU_DEP_3) | instskip(NEXT) | instid1(VALU_DEP_4)
	v_dual_mov_b32 v1, v4 :: v_dual_mov_b32 v180, v6
	v_add3_u32 v181, v12, v7, v11
	s_delay_alu instid0(VALU_DEP_4)
	s_and_b32 vcc_lo, exec_lo, s2
	s_cbranch_vccnz .LBB0_9
; %bb.7:                                ;   in Loop: Header=BB0_2 Depth=1
	v_dual_mov_b32 v5, v160 :: v_dual_mov_b32 v6, v161
	s_branch .LBB0_2
.LBB0_8:
	v_dual_mov_b32 v181, v2 :: v_dual_mov_b32 v180, v1
	v_dual_mov_b32 v161, v6 :: v_dual_mov_b32 v160, v5
.LBB0_9:
	s_load_b64 s[0:1], s[0:1], 0x28
	v_mul_hi_u32 v3, 0x20c49bb, v0
	s_lshl_b64 s[10:11], s[10:11], 3
                                        ; implicit-def: $vgpr255
	s_delay_alu instid0(SALU_CYCLE_1) | instskip(SKIP_4) | instid1(VALU_DEP_1)
	s_add_u32 s2, s18, s10
	s_addc_u32 s3, s19, s11
	s_waitcnt lgkmcnt(0)
	v_cmp_gt_u64_e32 vcc_lo, s[0:1], v[160:161]
	v_cmp_le_u64_e64 s0, s[0:1], v[160:161]
	s_and_saveexec_b32 s1, s0
	s_delay_alu instid0(SALU_CYCLE_1)
	s_xor_b32 s0, exec_lo, s1
; %bb.10:
	v_mul_u32_u24_e32 v1, 0x7d, v3
                                        ; implicit-def: $vgpr3
	s_delay_alu instid0(VALU_DEP_1)
	v_sub_nc_u32_e32 v255, v0, v1
                                        ; implicit-def: $vgpr0
                                        ; implicit-def: $vgpr1_vgpr2
; %bb.11:
	s_or_saveexec_b32 s1, s0
                                        ; implicit-def: $vgpr72_vgpr73
                                        ; implicit-def: $vgpr88_vgpr89
                                        ; implicit-def: $vgpr76_vgpr77
                                        ; implicit-def: $vgpr80_vgpr81
                                        ; implicit-def: $vgpr92_vgpr93
                                        ; implicit-def: $vgpr68_vgpr69
                                        ; implicit-def: $vgpr84_vgpr85
                                        ; implicit-def: $vgpr64_vgpr65
                                        ; implicit-def: $vgpr48_vgpr49
                                        ; implicit-def: $vgpr32_vgpr33
                                        ; implicit-def: $vgpr56_vgpr57
                                        ; implicit-def: $vgpr44_vgpr45
                                        ; implicit-def: $vgpr36_vgpr37
                                        ; implicit-def: $vgpr60_vgpr61
                                        ; implicit-def: $vgpr4_vgpr5
                                        ; implicit-def: $vgpr8_vgpr9
                                        ; implicit-def: $vgpr20_vgpr21
                                        ; implicit-def: $vgpr16_vgpr17
                                        ; implicit-def: $vgpr12_vgpr13
                                        ; implicit-def: $vgpr28_vgpr29
                                        ; implicit-def: $vgpr24_vgpr25
                                        ; implicit-def: $vgpr40_vgpr41
                                        ; implicit-def: $vgpr108_vgpr109
                                        ; implicit-def: $vgpr112_vgpr113
                                        ; implicit-def: $vgpr52_vgpr53
                                        ; implicit-def: $vgpr120_vgpr121
                                        ; implicit-def: $vgpr116_vgpr117
                                        ; implicit-def: $vgpr96_vgpr97
                                        ; implicit-def: $vgpr104_vgpr105
                                        ; implicit-def: $vgpr100_vgpr101
	s_delay_alu instid0(SALU_CYCLE_1)
	s_xor_b32 exec_lo, exec_lo, s1
	s_cbranch_execz .LBB0_13
; %bb.12:
	s_add_u32 s10, s16, s10
	s_addc_u32 s11, s17, s11
	v_lshlrev_b64 v[1:2], 4, v[1:2]
	s_load_b64 s[10:11], s[10:11], 0x0
	s_waitcnt lgkmcnt(0)
	v_mul_lo_u32 v6, s11, v160
	v_mul_lo_u32 v7, s10, v161
	v_mad_u64_u32 v[4:5], null, s10, v160, 0
	s_delay_alu instid0(VALU_DEP_1) | instskip(SKIP_1) | instid1(VALU_DEP_2)
	v_add3_u32 v5, v5, v7, v6
	v_mul_u32_u24_e32 v6, 0x7d, v3
	v_lshlrev_b64 v[3:4], 4, v[4:5]
	s_delay_alu instid0(VALU_DEP_2) | instskip(NEXT) | instid1(VALU_DEP_2)
	v_sub_nc_u32_e32 v255, v0, v6
	v_add_co_u32 v0, s0, s4, v3
	s_delay_alu instid0(VALU_DEP_1) | instskip(NEXT) | instid1(VALU_DEP_3)
	v_add_co_ci_u32_e64 v3, s0, s5, v4, s0
	v_lshlrev_b32_e32 v4, 4, v255
	s_delay_alu instid0(VALU_DEP_3) | instskip(NEXT) | instid1(VALU_DEP_1)
	v_add_co_u32 v0, s0, v0, v1
	v_add_co_ci_u32_e64 v1, s0, v3, v2, s0
	s_delay_alu instid0(VALU_DEP_2) | instskip(NEXT) | instid1(VALU_DEP_1)
	v_add_co_u32 v0, s0, v0, v4
	v_add_co_ci_u32_e64 v1, s0, 0, v1, s0
	s_delay_alu instid0(VALU_DEP_2) | instskip(NEXT) | instid1(VALU_DEP_1)
	v_add_co_u32 v70, s0, 0x4000, v0
	v_add_co_ci_u32_e64 v71, s0, 0, v1, s0
	v_add_co_u32 v72, s0, 0x9000, v0
	s_delay_alu instid0(VALU_DEP_1) | instskip(SKIP_1) | instid1(VALU_DEP_1)
	v_add_co_ci_u32_e64 v73, s0, 0, v1, s0
	v_add_co_u32 v78, s0, 0x5000, v0
	v_add_co_ci_u32_e64 v79, s0, 0, v1, s0
	v_add_co_u32 v2, s0, 0xa000, v0
	s_delay_alu instid0(VALU_DEP_1) | instskip(SKIP_1) | instid1(VALU_DEP_1)
	v_add_co_ci_u32_e64 v3, s0, 0, v1, s0
	;; [unrolled: 5-line block ×6, first 2 shown]
	v_add_co_u32 v122, s0, 0xd000, v0
	v_add_co_ci_u32_e64 v123, s0, 0, v1, s0
	v_add_co_u32 v124, s0, 0xe000, v0
	s_clause 0x11
	global_load_b128 v[50:53], v[2:3], off offset:1040
	global_load_b128 v[106:109], v[78:79], off offset:3520
	;; [unrolled: 1-line block ×18, first 2 shown]
	v_add_co_ci_u32_e64 v125, s0, 0, v1, s0
	s_clause 0xb
	global_load_b128 v[98:101], v[0:1], off
	global_load_b128 v[114:117], v[0:1], off offset:2000
	global_load_b128 v[110:113], v[0:1], off offset:4000
	;; [unrolled: 1-line block ×11, first 2 shown]
.LBB0_13:
	s_or_b32 exec_lo, exec_lo, s1
	s_waitcnt vmcnt(7)
	v_add_f64 v[0:1], v[50:51], v[118:119]
	v_add_f64 v[122:123], v[38:39], v[106:107]
	;; [unrolled: 1-line block ×4, first 2 shown]
	s_waitcnt vmcnt(5)
	v_add_f64 v[128:129], v[94:95], v[102:103]
	v_add_f64 v[130:131], v[34:35], v[58:59]
	;; [unrolled: 1-line block ×3, first 2 shown]
	s_waitcnt vmcnt(2)
	v_add_f64 v[134:135], v[82:83], v[62:63]
	s_waitcnt vmcnt(1)
	v_add_f64 v[136:137], v[78:79], v[90:91]
	;; [unrolled: 2-line block ×3, first 2 shown]
	v_add_f64 v[140:141], v[118:119], v[114:115]
	v_add_f64 v[142:143], v[120:121], -v[52:53]
	v_add_f64 v[144:145], v[106:107], v[110:111]
	v_add_f64 v[162:163], v[58:59], v[2:3]
	v_add_f64 v[146:147], v[108:109], -v[40:41]
	v_add_f64 v[148:149], v[26:27], v[22:23]
	;; [unrolled: 3-line block ×4, first 2 shown]
	v_add_f64 v[168:169], v[90:91], v[66:67]
	v_add_f64 v[158:159], v[104:105], -v[96:97]
	s_mov_b32 s0, 0xe8584caa
	s_mov_b32 s1, 0x3febb67a
	v_add_f64 v[118:119], v[118:119], -v[50:51]
	v_add_f64 v[106:107], v[106:107], -v[38:39]
	s_mov_b32 s5, 0xbfebb67a
	s_mov_b32 s4, s0
	v_mad_u32_u24 v172, v255, 24, 0
	s_load_b64 s[2:3], s[2:3], 0x0
	v_add_f64 v[26:27], v[26:27], -v[10:11]
	v_add_f64 v[18:19], v[18:19], -v[6:7]
	;; [unrolled: 1-line block ×3, first 2 shown]
	v_add_nc_u32_e32 v173, 0xbb8, v172
	v_add_nc_u32_e32 v174, 0x1770, v172
	;; [unrolled: 1-line block ×3, first 2 shown]
	v_fma_f64 v[0:1], v[0:1], -0.5, v[114:115]
	v_fma_f64 v[110:111], v[122:123], -0.5, v[110:111]
	;; [unrolled: 1-line block ×5, first 2 shown]
	v_add_f64 v[122:123], v[60:61], -v[36:37]
	v_add_f64 v[124:125], v[56:57], -v[32:33]
	v_fma_f64 v[2:3], v[130:131], -0.5, v[2:3]
	v_add_f64 v[126:127], v[64:65], -v[84:85]
	v_fma_f64 v[42:43], v[132:133], -0.5, v[42:43]
	;; [unrolled: 2-line block ×3, first 2 shown]
	v_fma_f64 v[66:67], v[136:137], -0.5, v[66:67]
	v_add_f64 v[132:133], v[88:89], -v[72:73]
	v_add_f64 v[134:135], v[86:87], v[74:75]
	v_fma_f64 v[74:75], v[138:139], -0.5, v[74:75]
	v_add_f64 v[50:51], v[50:51], v[140:141]
	v_add_f64 v[38:39], v[38:39], v[144:145]
	;; [unrolled: 1-line block ×13, first 2 shown]
	v_add_nc_u32_e32 v176, 0x2ee0, v172
	v_add_nc_u32_e32 v177, 0x3aa0, v172
	;; [unrolled: 1-line block ×6, first 2 shown]
	v_add_f64 v[10:11], v[20:21], v[16:17]
	v_add_f64 v[34:35], v[58:59], -v[34:35]
	v_add_f64 v[30:31], v[54:55], -v[30:31]
	v_fma_f64 v[162:163], v[142:143], s[0:1], v[0:1]
	v_fma_f64 v[164:165], v[146:147], s[0:1], v[110:111]
	;; [unrolled: 1-line block ×15, first 2 shown]
	v_add_f64 v[150:151], v[96:97], v[104:105]
	v_fma_f64 v[46:47], v[126:127], s[4:5], v[46:47]
	v_fma_f64 v[66:67], v[128:129], s[4:5], v[66:67]
	;; [unrolled: 1-line block ×5, first 2 shown]
	v_add_f64 v[126:127], v[70:71], v[134:135]
	v_add_f64 v[132:133], v[12:13], v[28:29]
	;; [unrolled: 1-line block ×5, first 2 shown]
	v_fma_f64 v[52:53], v[120:121], -0.5, v[116:117]
	v_add_f64 v[28:29], v[28:29], v[24:25]
	v_fma_f64 v[108:109], v[108:109], -0.5, v[112:113]
	v_add_f64 v[20:21], v[60:61], v[4:5]
	v_add_f64 v[82:83], v[92:93], v[68:69]
	v_add_f64 v[70:71], v[86:87], -v[70:71]
	v_add_f64 v[40:41], v[40:41], v[130:131]
	v_lshl_add_u32 v199, v255, 3, 0
	v_and_b32_e32 v186, 0xff, v255
	v_add_nc_u32_e32 v214, 0x7d, v255
	v_add_nc_u32_e32 v216, 0x177, v255
	;; [unrolled: 1-line block ×3, first 2 shown]
	ds_store_2addr_b64 v173, v[50:51], v[162:163] offset1:1
	ds_store_2addr_b64 v174, v[38:39], v[164:165] offset1:1
	;; [unrolled: 1-line block ×5, first 2 shown]
	ds_store_b64 v172, v[98:99] offset:16
	ds_store_b64 v172, v[0:1] offset:3016
	ds_store_b64 v172, v[110:111] offset:6016
	ds_store_b64 v172, v[22:23] offset:9016
	ds_store_b64 v172, v[14:15] offset:12016
	ds_store_b64 v172, v[144:145] offset:15000
	ds_store_2addr_b64 v177, v[142:143], v[2:3] offset1:1
	ds_store_b64 v172, v[148:149] offset:18000
	ds_store_2addr_b64 v178, v[122:123], v[42:43] offset1:1
	ds_store_2addr_b64 v179, v[152:153], v[124:125] offset1:1
	;; [unrolled: 1-line block ×3, first 2 shown]
	v_add_f64 v[14:15], v[32:33], v[56:57]
	v_add_f64 v[22:23], v[84:85], v[64:65]
	;; [unrolled: 1-line block ×4, first 2 shown]
	ds_store_b64 v172, v[46:47] offset:21016
	ds_store_b64 v172, v[66:67] offset:24016
	;; [unrolled: 1-line block ×3, first 2 shown]
	ds_store_2addr_b64 v183, v[128:129], v[74:75] offset1:1
	v_add_f64 v[66:67], v[104:105], v[100:101]
	v_add_f64 v[74:75], v[102:103], -v[94:95]
	v_fma_f64 v[94:95], v[150:151], -0.5, v[100:101]
	v_fma_f64 v[24:25], v[132:133], -0.5, v[24:25]
	;; [unrolled: 1-line block ×4, first 2 shown]
	v_add_f64 v[100:101], v[64:65], v[48:49]
	v_add_f64 v[92:93], v[90:91], -v[78:79]
	v_add_f64 v[98:99], v[56:57], v[44:45]
	v_fma_f64 v[86:87], v[118:119], s[4:5], v[52:53]
	v_fma_f64 v[104:105], v[106:107], s[4:5], v[108:109]
	v_add_f64 v[12:13], v[12:13], v[28:29]
	v_add_f64 v[28:29], v[8:9], v[10:11]
	v_fma_f64 v[118:119], v[118:119], s[0:1], v[52:53]
	v_fma_f64 v[106:107], v[106:107], s[0:1], v[108:109]
	v_add_nc_u32_e32 v202, 0x1400, v199
	v_add_nc_u32_e32 v208, 0x6400, v199
	v_add_nc_u32_e32 v212, 0x2400, v199
	v_add_nc_u32_e32 v210, 0x3c00, v199
	v_add_nc_u32_e32 v213, 0x6c00, v199
	v_and_b32_e32 v185, 0xff, v214
	v_add_nc_u32_e32 v203, 0x2c00, v199
	v_add_nc_u32_e32 v209, 0xc00, v199
	v_add_nc_u32_e32 v211, 0x5400, v199
	v_add_nc_u32_e32 v200, 0x4400, v199
	v_add_nc_u32_e32 v201, 0x5c00, v199
	v_add_nc_u32_e32 v204, 0x400, v199
	s_waitcnt lgkmcnt(0)
	s_barrier
	v_fma_f64 v[14:15], v[14:15], -0.5, v[44:45]
	v_fma_f64 v[22:23], v[22:23], -0.5, v[48:49]
	;; [unrolled: 1-line block ×4, first 2 shown]
	v_add_f64 v[68:69], v[88:89], v[76:77]
	buffer_gl0_inv
	ds_load_2addr_b64 v[0:3], v199 offset1:125
	v_add_nc_u32_e32 v205, 0x1c00, v199
	v_add_nc_u32_e32 v207, 0x3400, v199
	v_add_f64 v[96:97], v[96:97], v[66:67]
	v_add_nc_u32_e32 v206, 0x4c00, v199
	v_fma_f64 v[102:103], v[74:75], s[4:5], v[94:95]
	v_fma_f64 v[94:95], v[74:75], s[0:1], v[94:95]
	;; [unrolled: 1-line block ×6, first 2 shown]
	v_add_f64 v[18:19], v[36:37], v[20:21]
	v_fma_f64 v[20:21], v[34:35], s[4:5], v[60:61]
	v_fma_f64 v[26:27], v[34:35], s[0:1], v[60:61]
	v_add_f64 v[34:35], v[84:85], v[100:101]
	v_add_f64 v[60:61], v[80:81], v[82:83]
	;; [unrolled: 1-line block ×3, first 2 shown]
	v_mul_lo_u16 v84, 0xab, v186
	ds_load_2addr_b64 v[114:117], v202 offset0:110 offset1:235
	ds_load_2addr_b64 v[140:143], v203 offset0:92 offset1:217
	;; [unrolled: 1-line block ×11, first 2 shown]
	v_and_b32_e32 v187, 0xffff, v216
	v_lshrrev_b16 v221, 9, v84
	v_and_b32_e32 v184, 0xffff, v215
	v_add_nc_u32_e32 v217, 0x1f4, v255
	v_add_nc_u32_e32 v218, 0x271, v255
	s_mov_b32 s14, 0x134454ff
	s_mov_b32 s15, 0x3fee6f0e
	;; [unrolled: 1-line block ×3, first 2 shown]
	v_and_b32_e32 v189, 0xffff, v217
	v_and_b32_e32 v188, 0xffff, v218
	s_mov_b32 s16, s14
	v_fma_f64 v[36:37], v[30:31], s[4:5], v[14:15]
	v_fma_f64 v[14:15], v[30:31], s[0:1], v[14:15]
	;; [unrolled: 1-line block ×8, first 2 shown]
	v_add_f64 v[62:63], v[72:73], v[68:69]
	ds_load_2addr_b64 v[72:75], v210 offset0:80 offset1:205
	ds_load_2addr_b64 v[68:71], v211 offset0:62 offset1:187
	;; [unrolled: 1-line block ×3, first 2 shown]
	s_waitcnt lgkmcnt(0)
	s_barrier
	buffer_gl0_inv
	ds_store_2addr_b64 v172, v[96:97], v[102:103] offset1:1
	ds_store_b64 v172, v[94:95] offset:16
	ds_store_2addr_b64 v173, v[158:159], v[86:87] offset1:1
	ds_store_2addr_b64 v174, v[40:41], v[104:105] offset1:1
	;; [unrolled: 1-line block ×4, first 2 shown]
	v_mul_lo_u16 v12, 0xab, v185
	v_mul_lo_u16 v13, v221, 3
	ds_store_b64 v172, v[118:119] offset:3016
	ds_store_b64 v172, v[106:107] offset:6016
	;; [unrolled: 1-line block ×5, first 2 shown]
	ds_store_2addr_b64 v177, v[20:21], v[26:27] offset1:1
	ds_store_b64 v172, v[32:33] offset:18000
	v_lshrrev_b16 v190, 9, v12
	v_sub_nc_u16 v12, v255, v13
	s_mov_b32 s10, 0x4755a5e
	s_mov_b32 s11, 0x3fe2cf23
	;; [unrolled: 1-line block ×3, first 2 shown]
	v_mul_lo_u16 v13, v190, 3
	v_and_b32_e32 v222, 0xff, v12
	s_mov_b32 s12, s10
	s_mov_b32 s4, 0x372fe950
	;; [unrolled: 1-line block ×3, first 2 shown]
	v_sub_nc_u16 v12, v214, v13
	v_lshlrev_b32_e32 v13, 6, v222
	v_cmp_gt_u32_e64 s0, 0x4b, v255
	s_delay_alu instid0(VALU_DEP_3)
	v_and_b32_e32 v191, 0xff, v12
	ds_store_2addr_b64 v178, v[36:37], v[14:15] offset1:1
	ds_store_2addr_b64 v179, v[34:35], v[30:31] offset1:1
	;; [unrolled: 1-line block ×3, first 2 shown]
	v_lshlrev_b32_e32 v12, 6, v191
	ds_store_b64 v172, v[22:23] offset:21016
	ds_store_b64 v172, v[38:39] offset:24016
	;; [unrolled: 1-line block ×3, first 2 shown]
	ds_store_2addr_b64 v183, v[82:83], v[42:43] offset1:1
	s_waitcnt lgkmcnt(0)
	s_barrier
	buffer_gl0_inv
	s_clause 0x4
	global_load_b128 v[118:121], v13, s[8:9]
	global_load_b128 v[150:153], v12, s[8:9]
	global_load_b128 v[156:159], v13, s[8:9] offset:16
	global_load_b128 v[164:167], v12, s[8:9] offset:16
	;; [unrolled: 1-line block ×3, first 2 shown]
	v_mul_u32_u24_e32 v15, 0xaaab, v187
	s_clause 0x1
	global_load_b128 v[128:131], v13, s[8:9] offset:32
	global_load_b128 v[132:135], v12, s[8:9] offset:48
	v_mul_u32_u24_e32 v14, 0xaaab, v184
	global_load_b128 v[136:139], v13, s[8:9] offset:48
	v_lshrrev_b32_e32 v193, 17, v15
	v_lshrrev_b32_e32 v192, 17, v14
	s_delay_alu instid0(VALU_DEP_2) | instskip(NEXT) | instid1(VALU_DEP_2)
	v_mul_lo_u16 v12, v193, 3
	v_mul_lo_u16 v14, v192, 3
	s_delay_alu instid0(VALU_DEP_2) | instskip(NEXT) | instid1(VALU_DEP_1)
	v_sub_nc_u16 v12, v216, v12
	v_and_b32_e32 v195, 0xffff, v12
	s_delay_alu instid0(VALU_DEP_1) | instskip(SKIP_3) | instid1(VALU_DEP_2)
	v_lshlrev_b32_e32 v36, 6, v195
	global_load_b128 v[20:23], v36, s[8:9]
	v_sub_nc_u16 v13, v215, v14
	v_mul_u32_u24_e32 v14, 0xaaab, v188
	v_and_b32_e32 v194, 0xffff, v13
	v_mul_u32_u24_e32 v13, 0xaaab, v189
	s_delay_alu instid0(VALU_DEP_3) | instskip(NEXT) | instid1(VALU_DEP_3)
	v_lshrrev_b32_e32 v197, 17, v14
	v_lshlrev_b32_e32 v32, 6, v194
	s_delay_alu instid0(VALU_DEP_3) | instskip(NEXT) | instid1(VALU_DEP_3)
	v_lshrrev_b32_e32 v196, 17, v13
	v_mul_lo_u16 v13, v197, 3
	global_load_b128 v[146:149], v32, s[8:9]
	v_mul_lo_u16 v12, v196, 3
	v_sub_nc_u16 v28, v218, v13
	s_delay_alu instid0(VALU_DEP_2)
	v_sub_nc_u16 v24, v217, v12
	s_clause 0x1
	global_load_b128 v[12:15], v32, s[8:9] offset:16
	global_load_b128 v[16:19], v36, s[8:9] offset:16
	v_and_b32_e32 v220, 0xffff, v28
	global_load_b128 v[28:31], v36, s[8:9] offset:32
	v_and_b32_e32 v219, 0xffff, v24
	global_load_b128 v[24:27], v32, s[8:9] offset:32
	v_lshlrev_b32_e32 v104, 6, v220
	global_load_b128 v[32:35], v32, s[8:9] offset:48
	v_lshlrev_b32_e32 v100, 6, v219
	s_clause 0x8
	global_load_b128 v[36:39], v36, s[8:9] offset:48
	global_load_b128 v[40:43], v100, s[8:9]
	global_load_b128 v[60:63], v104, s[8:9]
	global_load_b128 v[80:83], v100, s[8:9] offset:16
	global_load_b128 v[84:87], v104, s[8:9] offset:16
	;; [unrolled: 1-line block ×6, first 2 shown]
	ds_load_2addr_b64 v[168:171], v202 offset0:110 offset1:235
	ds_load_2addr_b64 v[172:175], v203 offset0:92 offset1:217
	;; [unrolled: 1-line block ×4, first 2 shown]
	s_waitcnt vmcnt(23) lgkmcnt(3)
	v_mul_f64 v[112:113], v[168:169], v[120:121]
	v_mul_f64 v[120:121], v[114:115], v[120:121]
	s_waitcnt vmcnt(22)
	v_mul_f64 v[122:123], v[170:171], v[152:153]
	v_mul_f64 v[144:145], v[116:117], v[152:153]
	s_waitcnt vmcnt(21) lgkmcnt(2)
	v_mul_f64 v[182:183], v[172:173], v[158:159]
	v_mul_f64 v[227:228], v[140:141], v[158:159]
	s_waitcnt vmcnt(20)
	v_mul_f64 v[229:230], v[174:175], v[166:167]
	v_mul_f64 v[166:167], v[142:143], v[166:167]
	s_waitcnt vmcnt(18) lgkmcnt(1)
	v_mul_f64 v[231:232], v[176:177], v[130:131]
	v_mul_f64 v[237:238], v[90:91], v[126:127]
	s_waitcnt vmcnt(16) lgkmcnt(0)
	v_mul_f64 v[239:240], v[223:224], v[138:139]
	v_mul_f64 v[241:242], v[76:77], v[138:139]
	;; [unrolled: 1-line block ×6, first 2 shown]
	v_fma_f64 v[162:163], v[114:115], v[118:119], -v[112:113]
	v_fma_f64 v[152:153], v[168:169], v[118:119], v[120:121]
	ds_load_2addr_b64 v[112:115], v205 offset0:104 offset1:229
	v_fma_f64 v[154:155], v[116:117], v[150:151], -v[122:123]
	ds_load_2addr_b64 v[116:119], v207 offset0:86 offset1:211
	ds_load_2addr_b64 v[120:123], v206 offset0:68 offset1:193
	v_fma_f64 v[150:151], v[170:171], v[150:151], v[144:145]
	v_fma_f64 v[158:159], v[140:141], v[156:157], -v[182:183]
	v_fma_f64 v[134:135], v[172:173], v[156:157], v[227:228]
	v_fma_f64 v[156:157], v[142:143], v[164:165], -v[229:230]
	ds_load_2addr_b64 v[138:141], v208 offset0:50 offset1:175
	ds_load_2addr_b64 v[142:145], v212 offset0:98 offset1:223
	v_fma_f64 v[130:131], v[174:175], v[164:165], v[166:167]
	v_fma_f64 v[168:169], v[88:89], v[128:129], -v[231:232]
	s_waitcnt vmcnt(14)
	v_mul_f64 v[182:183], v[56:57], v[148:149]
	v_fma_f64 v[164:165], v[176:177], v[128:129], v[233:234]
	ds_load_2addr_b64 v[126:129], v210 offset0:80 offset1:205
	v_fma_f64 v[170:171], v[90:91], v[124:125], -v[235:236]
	ds_load_2addr_b64 v[88:91], v211 offset0:62 offset1:187
	v_fma_f64 v[166:167], v[76:77], v[136:137], -v[239:240]
	v_fma_f64 v[76:77], v[223:224], v[136:137], v[241:242]
	v_fma_f64 v[78:79], v[78:79], v[132:133], -v[243:244]
	s_waitcnt vmcnt(12)
	v_mul_f64 v[136:137], v[50:51], v[18:19]
	s_waitcnt lgkmcnt(6)
	v_mul_f64 v[172:173], v[112:113], v[148:149]
	v_mul_f64 v[174:175], v[114:115], v[22:23]
	v_fma_f64 v[148:149], v[178:179], v[124:125], v[237:238]
	s_waitcnt lgkmcnt(5)
	v_mul_f64 v[178:179], v[118:119], v[18:19]
	s_waitcnt vmcnt(10) lgkmcnt(4)
	v_mul_f64 v[227:228], v[120:121], v[26:27]
	v_fma_f64 v[124:125], v[225:226], v[132:133], v[245:246]
	v_mul_f64 v[176:177], v[116:117], v[14:15]
	s_waitcnt vmcnt(8) lgkmcnt(3)
	v_mul_f64 v[231:232], v[140:141], v[38:39]
	s_waitcnt vmcnt(7) lgkmcnt(2)
	v_mul_f64 v[233:234], v[142:143], v[42:43]
	v_mul_f64 v[223:224], v[122:123], v[30:31]
	;; [unrolled: 1-line block ×3, first 2 shown]
	s_waitcnt vmcnt(6)
	v_mul_f64 v[225:226], v[144:145], v[62:63]
	s_waitcnt vmcnt(5) lgkmcnt(1)
	v_mul_f64 v[235:236], v[126:127], v[82:83]
	s_waitcnt vmcnt(4)
	v_mul_f64 v[237:238], v[128:129], v[86:87]
	s_waitcnt vmcnt(3) lgkmcnt(0)
	v_mul_f64 v[239:240], v[88:89], v[94:95]
	s_waitcnt vmcnt(2)
	v_mul_f64 v[241:242], v[90:91], v[98:99]
	v_mul_f64 v[82:83], v[72:73], v[82:83]
	;; [unrolled: 1-line block ×3, first 2 shown]
	v_fma_f64 v[132:133], v[56:57], v[146:147], -v[172:173]
	v_fma_f64 v[56:57], v[112:113], v[146:147], v[182:183]
	v_mul_f64 v[146:147], v[58:59], v[22:23]
	v_fma_f64 v[22:23], v[58:59], v[20:21], -v[174:175]
	v_fma_f64 v[50:51], v[50:51], v[16:17], -v[178:179]
	v_mul_f64 v[172:173], v[44:45], v[26:27]
	v_fma_f64 v[58:59], v[44:45], v[24:25], -v[227:228]
	v_mul_f64 v[178:179], v[66:67], v[38:39]
	;; [unrolled: 2-line block ×3, first 2 shown]
	ds_load_2addr_b64 v[42:45], v213 offset0:44 offset1:169
	v_mul_f64 v[174:175], v[46:47], v[30:31]
	v_mul_f64 v[112:113], v[48:49], v[14:15]
	v_fma_f64 v[48:49], v[48:49], v[12:13], -v[176:177]
	v_fma_f64 v[46:47], v[46:47], v[28:29], -v[223:224]
	v_mul_f64 v[176:177], v[64:65], v[34:35]
	v_fma_f64 v[38:39], v[64:65], v[32:33], -v[229:230]
	v_mul_f64 v[182:183], v[54:55], v[62:63]
	v_fma_f64 v[18:19], v[52:53], v[40:41], -v[233:234]
	v_fma_f64 v[14:15], v[54:55], v[60:61], -v[225:226]
	;; [unrolled: 1-line block ×4, first 2 shown]
	v_mul_f64 v[72:73], v[68:69], v[94:95]
	v_mul_f64 v[74:75], v[70:71], v[98:99]
	v_fma_f64 v[54:55], v[68:69], v[92:93], -v[239:240]
	v_fma_f64 v[52:53], v[70:71], v[96:97], -v[241:242]
	s_waitcnt vmcnt(1)
	v_mul_f64 v[68:69], v[108:109], v[102:103]
	s_waitcnt vmcnt(0)
	v_mul_f64 v[70:71], v[110:111], v[106:107]
	v_and_b32_e32 v94, 0xffff, v221
	v_lshlrev_b32_e32 v95, 3, v222
	s_waitcnt lgkmcnt(0)
	v_mul_f64 v[30:31], v[42:43], v[102:103]
	v_lshlrev_b32_e32 v98, 3, v191
	v_fma_f64 v[16:17], v[118:119], v[16:17], v[136:137]
	v_mul_u32_u24_e32 v94, 0x78, v94
	v_add_f64 v[136:137], v[150:151], v[124:125]
	v_lshlrev_b32_e32 v99, 3, v195
	s_delay_alu instid0(VALU_DEP_3) | instskip(SKIP_4) | instid1(VALU_DEP_4)
	v_add3_u32 v94, 0, v94, v95
	v_and_b32_e32 v95, 0xffff, v190
	v_fma_f64 v[20:21], v[114:115], v[20:21], v[146:147]
	v_add_f64 v[229:230], v[22:23], -v[50:51]
	v_fma_f64 v[24:25], v[120:121], v[24:25], v[172:173]
	v_mul_u32_u24_e32 v95, 0x78, v95
	v_fma_f64 v[36:37], v[140:141], v[36:37], v[178:179]
	v_add_f64 v[140:141], v[4:5], v[132:133]
	v_fma_f64 v[40:41], v[142:143], v[40:41], v[66:67]
	v_fma_f64 v[66:67], v[126:127], v[80:81], v[82:83]
	;; [unrolled: 1-line block ×4, first 2 shown]
	v_add_f64 v[112:113], v[22:23], v[26:27]
	v_fma_f64 v[80:81], v[128:129], v[84:85], v[86:87]
	v_fma_f64 v[32:33], v[138:139], v[32:33], v[176:177]
	v_add_f64 v[82:83], v[152:153], -v[76:77]
	v_fma_f64 v[60:61], v[144:145], v[60:61], v[182:183]
	v_add_f64 v[84:85], v[162:163], -v[158:159]
	v_add_f64 v[122:123], v[134:135], v[164:165]
	v_add_f64 v[126:127], v[152:153], v[76:77]
	;; [unrolled: 1-line block ×3, first 2 shown]
	v_fma_f64 v[72:73], v[88:89], v[92:93], v[72:73]
	v_fma_f64 v[74:75], v[90:91], v[96:97], v[74:75]
	v_add_f64 v[90:91], v[162:163], v[166:167]
	v_add_f64 v[92:93], v[156:157], v[170:171]
	v_fma_f64 v[42:43], v[42:43], v[100:101], v[68:69]
	v_add_f64 v[68:69], v[158:159], v[168:169]
	v_add_f64 v[96:97], v[154:155], v[78:79]
	;; [unrolled: 1-line block ×3, first 2 shown]
	v_fma_f64 v[34:35], v[108:109], v[100:101], -v[30:31]
	v_mul_f64 v[30:31], v[44:45], v[106:107]
	v_fma_f64 v[44:45], v[44:45], v[104:105], v[70:71]
	v_add_f64 v[70:71], v[0:1], v[162:163]
	v_add_f64 v[100:101], v[48:49], v[58:59]
	;; [unrolled: 1-line block ×6, first 2 shown]
	v_add_f64 v[172:173], v[158:159], -v[162:163]
	v_add_f64 v[176:177], v[158:159], -v[168:169]
	;; [unrolled: 1-line block ×5, first 2 shown]
	v_add3_u32 v103, 0, v95, v98
	v_mul_u32_u24_e32 v95, 0x78, v192
	v_lshlrev_b32_e32 v98, 3, v194
	v_mul_u32_u24_e32 v106, 0x78, v197
	v_lshlrev_b32_e32 v107, 3, v219
	v_lshlrev_b32_e32 v108, 3, v220
	v_add_f64 v[219:220], v[170:171], -v[78:79]
	v_add3_u32 v102, 0, v95, v98
	v_mul_u32_u24_e32 v98, 0x78, v196
	v_add_f64 v[196:197], v[156:157], -v[154:155]
	v_add_f64 v[86:87], v[166:167], -v[168:169]
	v_add_f64 v[182:183], v[154:155], -v[156:157]
	v_add_f64 v[194:195], v[78:79], -v[170:171]
	v_add_f64 v[144:145], v[8:9], v[18:19]
	v_add_f64 v[225:226], v[48:49], -v[132:133]
	v_add_f64 v[227:228], v[58:59], -v[38:39]
	;; [unrolled: 1-line block ×4, first 2 shown]
	v_mul_u32_u24_e32 v95, 0x78, v193
	v_add3_u32 v98, 0, v98, v107
	v_add_f64 v[88:89], v[134:135], -v[164:165]
	v_fma_f64 v[68:69], v[68:69], -0.5, v[0:1]
	v_fma_f64 v[0:1], v[90:91], -0.5, v[0:1]
	;; [unrolled: 1-line block ×3, first 2 shown]
	v_add_f64 v[116:117], v[18:19], v[34:35]
	v_fma_f64 v[30:31], v[110:111], v[104:105], -v[30:31]
	v_add_f64 v[104:105], v[132:133], v[38:39]
	v_add_f64 v[110:111], v[50:51], v[46:47]
	v_fma_f64 v[2:3], v[96:97], -0.5, v[2:3]
	v_add_f64 v[96:97], v[64:65], -v[18:19]
	v_add_f64 v[70:71], v[70:71], v[158:159]
	v_add_f64 v[158:159], v[54:55], -v[34:35]
	v_fma_f64 v[100:101], v[100:101], -0.5, v[4:5]
	v_add3_u32 v99, 0, v95, v99
	v_add3_u32 v95, 0, v106, v108
	ds_load_2addr_b64 v[106:109], v199 offset1:125
	ds_load_2addr_b64 v[190:193], v204 offset0:122 offset1:247
	v_add_f64 v[174:175], v[168:169], -v[166:167]
	v_add_f64 v[237:238], v[18:19], -v[64:65]
	;; [unrolled: 1-line block ×3, first 2 shown]
	v_fma_f64 v[114:115], v[114:115], -0.5, v[8:9]
	v_add_f64 v[229:230], v[229:230], v[231:232]
	v_add_f64 v[231:232], v[66:67], -v[72:73]
	v_add_f64 v[146:147], v[146:147], v[62:63]
	v_add_f64 v[233:234], v[233:234], v[235:236]
	v_add_f64 v[235:236], v[40:41], -v[42:43]
	v_add_f64 v[138:139], v[138:139], v[156:157]
	v_add_f64 v[142:143], v[142:143], v[50:51]
	;; [unrolled: 1-line block ×3, first 2 shown]
	v_add_f64 v[219:220], v[56:57], -v[32:33]
	v_add_f64 v[84:85], v[84:85], v[86:87]
	v_add_f64 v[182:183], v[182:183], v[194:195]
	v_add_f64 v[194:195], v[12:13], -v[24:25]
	v_add_f64 v[144:145], v[144:145], v[64:65]
	v_add_f64 v[225:226], v[225:226], v[227:228]
	s_waitcnt lgkmcnt(1)
	v_add_f64 v[178:179], v[106:107], v[152:153]
	v_fma_f64 v[122:123], v[122:123], -0.5, v[106:107]
	v_fma_f64 v[106:107], v[126:127], -0.5, v[106:107]
	v_fma_f64 v[126:127], v[128:129], -0.5, v[108:109]
	v_add_f64 v[128:129], v[62:63], -v[14:15]
	v_add_f64 v[227:228], v[20:21], -v[36:37]
	v_add_f64 v[221:222], v[221:222], v[223:224]
	v_add_f64 v[223:224], v[16:17], -v[28:29]
	v_fma_f64 v[8:9], v[116:117], -0.5, v[8:9]
	v_add_f64 v[120:121], v[14:15], v[30:31]
	v_fma_f64 v[4:5], v[104:105], -0.5, v[4:5]
	v_fma_f64 v[104:105], v[110:111], -0.5, v[6:7]
	v_fma_f64 v[6:7], v[112:113], -0.5, v[6:7]
	v_add_f64 v[110:111], v[14:15], -v[62:63]
	v_add_f64 v[112:113], v[30:31], -v[52:53]
	v_fma_f64 v[116:117], v[118:119], -0.5, v[10:11]
	v_add_f64 v[118:119], v[108:109], v[150:151]
	v_fma_f64 v[108:109], v[136:137], -0.5, v[108:109]
	v_add_f64 v[136:137], v[140:141], v[48:49]
	v_add_f64 v[140:141], v[150:151], -v[124:125]
	v_add_f64 v[70:71], v[70:71], v[168:169]
	v_add_f64 v[168:169], v[80:81], -v[74:75]
	;; [unrolled: 2-line block ×3, first 2 shown]
	v_add_f64 v[86:87], v[52:53], -v[30:31]
	v_add_f64 v[162:163], v[162:163], -v[166:167]
	v_add_f64 v[92:93], v[237:238], v[92:93]
	v_fma_f64 v[237:238], v[88:89], s[16:17], v[0:1]
	v_fma_f64 v[0:1], v[88:89], s[14:15], v[0:1]
	v_add_f64 v[48:49], v[48:49], -v[58:59]
	v_add_f64 v[62:63], v[62:63], -v[52:53]
	v_add_f64 v[52:53], v[146:147], v[52:53]
	v_add_f64 v[156:157], v[156:157], -v[170:171]
	v_add_f64 v[138:139], v[138:139], v[170:171]
	v_add_f64 v[172:173], v[172:173], v[174:175]
	v_add_f64 v[174:175], v[152:153], -v[134:135]
	v_add_f64 v[152:153], v[134:135], -v[152:153]
	;; [unrolled: 1-line block ×3, first 2 shown]
	v_add_f64 v[134:135], v[178:179], v[134:135]
	v_fma_f64 v[178:179], v[219:220], s[14:15], v[100:101]
	v_fma_f64 v[100:101], v[219:220], s[16:17], v[100:101]
	v_add_f64 v[54:55], v[144:145], v[54:55]
	v_add_f64 v[50:51], v[50:51], -v[46:47]
	v_add_f64 v[46:47], v[142:143], v[46:47]
	v_add_f64 v[132:133], v[132:133], -v[38:39]
	v_add_f64 v[154:155], v[154:155], -v[78:79]
	v_fma_f64 v[146:147], v[231:232], s[16:17], v[8:9]
	v_fma_f64 v[10:11], v[120:121], -0.5, v[10:11]
	v_add_f64 v[120:121], v[130:131], -v[148:149]
	v_fma_f64 v[8:9], v[231:232], s[14:15], v[8:9]
	v_fma_f64 v[144:145], v[227:228], s[14:15], v[104:105]
	;; [unrolled: 1-line block ×3, first 2 shown]
	v_add_f64 v[110:111], v[110:111], v[112:113]
	v_fma_f64 v[112:113], v[82:83], s[14:15], v[68:69]
	v_fma_f64 v[68:69], v[82:83], s[16:17], v[68:69]
	;; [unrolled: 1-line block ×3, first 2 shown]
	v_add_f64 v[58:59], v[136:137], v[58:59]
	v_fma_f64 v[136:137], v[140:141], s[14:15], v[90:91]
	v_fma_f64 v[90:91], v[140:141], s[16:17], v[90:91]
	v_add_f64 v[70:71], v[70:71], v[166:167]
	v_fma_f64 v[166:167], v[235:236], s[14:15], v[114:115]
	v_fma_f64 v[114:115], v[235:236], s[16:17], v[114:115]
	;; [unrolled: 3-line block ×3, first 2 shown]
	v_fma_f64 v[104:105], v[227:228], s[16:17], v[104:105]
	v_fma_f64 v[237:238], v[82:83], s[10:11], v[237:238]
	v_fma_f64 v[82:83], v[82:83], s[12:13], v[0:1]
	v_add_f64 v[22:23], v[22:23], -v[26:27]
	v_add_f64 v[18:19], v[18:19], -v[34:35]
	;; [unrolled: 1-line block ×3, first 2 shown]
	v_add_f64 v[78:79], v[138:139], v[78:79]
	v_add_f64 v[30:31], v[52:53], v[30:31]
	v_add_f64 v[52:53], v[76:77], -v[164:165]
	v_add_f64 v[118:119], v[118:119], v[130:131]
	v_fma_f64 v[178:179], v[194:195], s[10:11], v[178:179]
	v_fma_f64 v[100:101], v[194:195], s[12:13], v[100:101]
	v_add_f64 v[194:195], v[20:21], v[36:37]
	v_add_f64 v[34:35], v[54:55], v[34:35]
	;; [unrolled: 1-line block ×3, first 2 shown]
	s_waitcnt lgkmcnt(0)
	v_add_f64 v[46:47], v[190:191], v[56:57]
	v_fma_f64 v[146:147], v[235:236], s[10:11], v[146:147]
	v_fma_f64 v[239:240], v[168:169], s[16:17], v[10:11]
	;; [unrolled: 1-line block ×13, first 2 shown]
	v_add_f64 v[120:121], v[12:13], v[24:25]
	v_fma_f64 v[166:167], v[231:232], s[10:11], v[166:167]
	v_fma_f64 v[114:115], v[231:232], s[12:13], v[114:115]
	v_add_f64 v[38:39], v[58:59], v[38:39]
	v_add_f64 v[58:59], v[56:57], v[32:33]
	v_fma_f64 v[128:129], v[219:220], s[10:11], v[128:129]
	v_fma_f64 v[4:5], v[219:220], s[12:13], v[4:5]
	;; [unrolled: 1-line block ×5, first 2 shown]
	v_add_f64 v[223:224], v[66:67], v[72:73]
	v_add_f64 v[227:228], v[40:41], v[42:43]
	;; [unrolled: 1-line block ×3, first 2 shown]
	v_fma_f64 v[237:238], v[172:173], s[4:5], v[237:238]
	v_fma_f64 v[82:83], v[172:173], s[4:5], v[82:83]
	v_add_f64 v[219:220], v[192:193], v[20:21]
	v_add_f64 v[172:173], v[164:165], -v[76:77]
	v_add_f64 v[52:53], v[174:175], v[52:53]
	v_fma_f64 v[178:179], v[221:222], s[4:5], v[178:179]
	v_fma_f64 v[100:101], v[221:222], s[4:5], v[100:101]
	v_add_f64 v[221:222], v[56:57], -v[12:13]
	v_fma_f64 v[146:147], v[96:97], s[4:5], v[146:147]
	v_fma_f64 v[235:236], v[158:159], s[10:11], v[239:240]
	;; [unrolled: 1-line block ×5, first 2 shown]
	v_add_f64 v[170:171], v[16:17], v[28:29]
	v_add_f64 v[158:159], v[60:61], v[44:45]
	ds_load_2addr_b64 v[0:3], v209 offset0:116 offset1:241
	v_fma_f64 v[112:113], v[84:85], s[4:5], v[112:113]
	v_fma_f64 v[88:89], v[168:169], s[10:11], v[88:89]
	;; [unrolled: 1-line block ×9, first 2 shown]
	v_fma_f64 v[58:59], v[58:59], -0.5, v[190:191]
	v_fma_f64 v[128:129], v[225:226], s[4:5], v[128:129]
	v_fma_f64 v[4:5], v[225:226], s[4:5], v[4:5]
	;; [unrolled: 1-line block ×6, first 2 shown]
	s_waitcnt lgkmcnt(0)
	s_barrier
	buffer_gl0_inv
	v_add_f64 v[168:169], v[0:1], v[40:41]
	v_fma_f64 v[166:167], v[223:224], -0.5, v[0:1]
	v_fma_f64 v[0:1], v[227:228], -0.5, v[0:1]
	v_add_f64 v[54:55], v[2:3], v[60:61]
	v_add_f64 v[84:85], v[150:151], -v[130:131]
	v_fma_f64 v[182:183], v[162:163], s[16:17], v[122:123]
	v_add_f64 v[233:234], v[32:33], -v[24:25]
	v_fma_f64 v[122:123], v[162:163], s[14:15], v[122:123]
	v_add_f64 v[150:151], v[130:131], -v[150:151]
	v_add_f64 v[225:226], v[148:149], -v[124:125]
	v_add_f64 v[130:131], v[134:135], v[164:165]
	v_fma_f64 v[134:135], v[176:177], s[14:15], v[106:107]
	v_fma_f64 v[114:115], v[86:87], s[4:5], v[235:236]
	;; [unrolled: 1-line block ×5, first 2 shown]
	v_add_f64 v[196:197], v[124:125], -v[148:149]
	v_fma_f64 v[106:107], v[176:177], s[16:17], v[106:107]
	v_fma_f64 v[164:165], v[156:157], s[14:15], v[108:109]
	;; [unrolled: 1-line block ×5, first 2 shown]
	v_fma_f64 v[110:111], v[120:121], -0.5, v[190:191]
	v_fma_f64 v[116:117], v[170:171], -0.5, v[192:193]
	;; [unrolled: 1-line block ×5, first 2 shown]
	v_fma_f64 v[158:159], v[154:155], s[16:17], v[126:127]
	v_fma_f64 v[126:127], v[154:155], s[14:15], v[126:127]
	ds_store_2addr_b64 v94, v[70:71], v[112:113] offset1:3
	ds_store_2addr_b64 v94, v[237:238], v[82:83] offset0:6 offset1:9
	ds_store_b64 v94, v[68:69] offset:96
	ds_store_2addr_b64 v103, v[78:79], v[136:137] offset1:3
	ds_store_2addr_b64 v103, v[138:139], v[140:141] offset0:6 offset1:9
	ds_store_b64 v103, v[90:91] offset:96
	;; [unrolled: 3-line block ×6, first 2 shown]
	v_add_f64 v[4:5], v[46:47], v[12:13]
	v_add_f64 v[6:7], v[12:13], -v[56:57]
	v_fma_f64 v[12:13], v[48:49], s[14:15], v[58:59]
	v_fma_f64 v[26:27], v[48:49], s[16:17], v[58:59]
	v_add_f64 v[30:31], v[24:25], -v[32:33]
	v_add_f64 v[34:35], v[20:21], -v[16:17]
	;; [unrolled: 1-line block ×3, first 2 shown]
	v_add_f64 v[46:47], v[219:220], v[16:17]
	v_add_f64 v[16:17], v[16:17], -v[20:21]
	v_add_f64 v[70:71], v[28:29], -v[36:37]
	v_fma_f64 v[8:9], v[132:133], s[16:17], v[110:111]
	v_fma_f64 v[10:11], v[132:133], s[14:15], v[110:111]
	;; [unrolled: 1-line block ×5, first 2 shown]
	v_add_f64 v[78:79], v[40:41], -v[66:67]
	v_add_f64 v[82:83], v[42:43], -v[72:73]
	v_add_f64 v[86:87], v[168:169], v[66:67]
	v_add_f64 v[40:41], v[66:67], -v[40:41]
	v_fma_f64 v[66:67], v[18:19], s[16:17], v[166:167]
	v_fma_f64 v[88:89], v[18:19], s[14:15], v[166:167]
	;; [unrolled: 1-line block ×4, first 2 shown]
	v_add_f64 v[92:93], v[72:73], -v[42:43]
	v_add_f64 v[96:97], v[60:61], -v[80:81]
	v_add_f64 v[100:101], v[44:45], -v[74:75]
	v_fma_f64 v[110:111], v[14:15], s[16:17], v[170:171]
	v_fma_f64 v[114:115], v[14:15], s[14:15], v[170:171]
	;; [unrolled: 1-line block ×3, first 2 shown]
	v_add_f64 v[54:55], v[54:55], v[80:81]
	v_add_f64 v[60:61], v[80:81], -v[60:61]
	v_add_f64 v[80:81], v[74:75], -v[44:45]
	v_fma_f64 v[104:105], v[62:63], s[14:15], v[2:3]
	v_fma_f64 v[2:3], v[62:63], s[16:17], v[2:3]
	v_add_f64 v[152:153], v[152:153], v[172:173]
	v_fma_f64 v[172:173], v[176:177], s[12:13], v[182:183]
	v_fma_f64 v[120:121], v[176:177], s[10:11], v[122:123]
	v_add_f64 v[84:85], v[84:85], v[196:197]
	v_add_f64 v[122:123], v[118:119], v[148:149]
	v_fma_f64 v[128:129], v[156:157], s[12:13], v[158:159]
	v_fma_f64 v[126:127], v[156:157], s[10:11], v[126:127]
	v_add_f64 v[140:141], v[221:222], v[233:234]
	;; [unrolled: 4-line block ×3, first 2 shown]
	v_fma_f64 v[138:139], v[154:155], s[12:13], v[164:165]
	v_fma_f64 v[108:109], v[154:155], s[10:11], v[108:109]
	;; [unrolled: 1-line block ×3, first 2 shown]
	v_add_f64 v[6:7], v[6:7], v[30:31]
	v_fma_f64 v[12:13], v[132:133], s[12:13], v[12:13]
	v_fma_f64 v[24:25], v[132:133], s[10:11], v[26:27]
	;; [unrolled: 1-line block ×3, first 2 shown]
	v_add_f64 v[26:27], v[34:35], v[38:39]
	v_fma_f64 v[20:21], v[50:51], s[12:13], v[20:21]
	v_fma_f64 v[30:31], v[50:51], s[10:11], v[56:57]
	v_add_f64 v[28:29], v[46:47], v[28:29]
	v_add_f64 v[16:17], v[16:17], v[70:71]
	v_fma_f64 v[34:35], v[22:23], s[12:13], v[58:59]
	v_add_f64 v[38:39], v[78:79], v[82:83]
	v_fma_f64 v[46:47], v[64:65], s[12:13], v[66:67]
	v_fma_f64 v[48:49], v[64:65], s[10:11], v[88:89]
	v_add_f64 v[40:41], v[40:41], v[92:93]
	v_fma_f64 v[56:57], v[18:19], s[12:13], v[90:91]
	v_fma_f64 v[18:19], v[18:19], s[10:11], v[0:1]
	v_add_f64 v[58:59], v[96:97], v[100:101]
	v_fma_f64 v[66:67], v[62:63], s[12:13], v[110:111]
	v_fma_f64 v[62:63], v[62:63], s[10:11], v[114:115]
	v_fma_f64 v[22:23], v[22:23], s[10:11], v[68:69]
	v_add_f64 v[50:51], v[86:87], v[72:73]
	v_add_f64 v[54:55], v[54:55], v[74:75]
	;; [unrolled: 1-line block ×3, first 2 shown]
	v_fma_f64 v[64:65], v[14:15], s[12:13], v[104:105]
	v_fma_f64 v[14:15], v[14:15], s[10:11], v[2:3]
	v_add_f64 v[68:69], v[130:131], v[76:77]
	v_fma_f64 v[70:71], v[52:53], s[4:5], v[172:173]
	v_add_f64 v[80:81], v[122:123], v[124:125]
	v_fma_f64 v[82:83], v[84:85], s[4:5], v[128:129]
	v_fma_f64 v[84:85], v[84:85], s[4:5], v[126:127]
	;; [unrolled: 1-line block ×3, first 2 shown]
	v_add_f64 v[32:33], v[4:5], v[32:33]
	v_fma_f64 v[72:73], v[152:153], s[4:5], v[112:113]
	v_fma_f64 v[74:75], v[152:153], s[4:5], v[106:107]
	s_waitcnt lgkmcnt(0)
	v_fma_f64 v[90:91], v[136:137], s[4:5], v[138:139]
	v_fma_f64 v[92:93], v[136:137], s[4:5], v[108:109]
	;; [unrolled: 1-line block ×3, first 2 shown]
	s_barrier
	v_fma_f64 v[12:13], v[6:7], s[4:5], v[12:13]
	v_fma_f64 v[24:25], v[6:7], s[4:5], v[24:25]
	;; [unrolled: 1-line block ×3, first 2 shown]
	buffer_gl0_inv
	v_fma_f64 v[20:21], v[26:27], s[4:5], v[20:21]
	v_fma_f64 v[26:27], v[26:27], s[4:5], v[30:31]
	v_add_f64 v[28:29], v[28:29], v[36:37]
	ds_load_2addr_b64 v[0:3], v199 offset1:125
	ds_load_2addr_b64 v[76:79], v202 offset0:110 offset1:235
	ds_load_2addr_b64 v[86:89], v203 offset0:92 offset1:217
	;; [unrolled: 1-line block ×4, first 2 shown]
	v_fma_f64 v[30:31], v[16:17], s[4:5], v[34:35]
	ds_load_2addr_b64 v[8:11], v204 offset0:122 offset1:247
	v_fma_f64 v[34:35], v[38:39], s[4:5], v[46:47]
	v_fma_f64 v[36:37], v[38:39], s[4:5], v[48:49]
	v_mul_lo_u16 v48, 0x89, v186
	v_fma_f64 v[38:39], v[40:41], s[4:5], v[56:57]
	v_fma_f64 v[18:19], v[40:41], s[4:5], v[18:19]
	ds_load_2addr_b64 v[140:143], v205 offset0:104 offset1:229
	ds_load_2addr_b64 v[136:139], v207 offset0:86 offset1:211
	;; [unrolled: 1-line block ×9, first 2 shown]
	s_waitcnt lgkmcnt(0)
	v_fma_f64 v[46:47], v[58:59], s[4:5], v[62:63]
	v_fma_f64 v[16:17], v[16:17], s[4:5], v[22:23]
	v_add_f64 v[22:23], v[50:51], v[42:43]
	v_add_f64 v[40:41], v[54:55], v[44:45]
	v_fma_f64 v[44:45], v[58:59], s[4:5], v[66:67]
	v_fma_f64 v[42:43], v[60:61], s[4:5], v[64:65]
	;; [unrolled: 1-line block ×3, first 2 shown]
	v_lshrrev_b16 v186, 11, v48
	v_mul_lo_u16 v48, 0x89, v185
	s_barrier
	buffer_gl0_inv
	ds_store_2addr_b64 v94, v[68:69], v[70:71] offset1:3
	ds_store_2addr_b64 v94, v[72:73], v[74:75] offset0:6 offset1:9
	ds_store_b64 v94, v[52:53] offset:96
	v_mul_lo_u16 v49, v186, 15
	v_lshrrev_b16 v190, 11, v48
	ds_store_2addr_b64 v103, v[80:81], v[82:83] offset1:3
	ds_store_2addr_b64 v103, v[90:91], v[92:93] offset0:6 offset1:9
	ds_store_b64 v103, v[84:85] offset:96
	ds_store_2addr_b64 v102, v[32:33], v[96:97] offset1:3
	ds_store_2addr_b64 v102, v[12:13], v[24:25] offset0:6 offset1:9
	v_sub_nc_u16 v12, v255, v49
	v_mul_lo_u16 v13, v190, 15
	ds_store_b64 v102, v[100:101] offset:96
	ds_store_2addr_b64 v99, v[28:29], v[20:21] offset1:3
	ds_store_2addr_b64 v99, v[30:31], v[16:17] offset0:6 offset1:9
	v_and_b32_e32 v191, 0xff, v12
	v_sub_nc_u16 v12, v214, v13
	ds_store_b64 v99, v[26:27] offset:96
	ds_store_2addr_b64 v98, v[22:23], v[34:35] offset1:3
	ds_store_2addr_b64 v98, v[38:39], v[18:19] offset0:6 offset1:9
	ds_store_b64 v98, v[36:37] offset:96
	ds_store_2addr_b64 v95, v[40:41], v[44:45] offset1:3
	ds_store_2addr_b64 v95, v[42:43], v[14:15] offset0:6 offset1:9
	v_lshlrev_b32_e32 v13, 6, v191
	v_and_b32_e32 v192, 0xff, v12
	ds_store_b64 v95, v[46:47] offset:96
	s_waitcnt lgkmcnt(0)
	s_barrier
	buffer_gl0_inv
	v_lshlrev_b32_e32 v12, 6, v192
	s_clause 0x5
	global_load_b128 v[80:83], v13, s[8:9] offset:192
	global_load_b128 v[90:93], v12, s[8:9] offset:192
	;; [unrolled: 1-line block ×6, first 2 shown]
	v_mul_u32_u24_e32 v14, 0x8889, v184
	v_mul_u32_u24_e32 v15, 0x8889, v187
	s_clause 0x1
	global_load_b128 v[174:177], v13, s[8:9] offset:240
	global_load_b128 v[219:222], v12, s[8:9] offset:240
	v_lshrrev_b32_e32 v193, 19, v14
	v_lshrrev_b32_e32 v187, 19, v15
	v_mul_u32_u24_e32 v15, 0x8889, v188
	s_delay_alu instid0(VALU_DEP_3) | instskip(NEXT) | instid1(VALU_DEP_3)
	v_mul_lo_u16 v13, v193, 15
	v_mul_lo_u16 v14, v187, 15
	s_delay_alu instid0(VALU_DEP_2) | instskip(NEXT) | instid1(VALU_DEP_2)
	v_sub_nc_u16 v12, v215, v13
	v_sub_nc_u16 v13, v216, v14
	v_mul_u32_u24_e32 v14, 0x8889, v189
	v_lshrrev_b32_e32 v189, 19, v15
	s_delay_alu instid0(VALU_DEP_4) | instskip(NEXT) | instid1(VALU_DEP_4)
	v_and_b32_e32 v195, 0xffff, v12
	v_and_b32_e32 v188, 0xffff, v13
	s_delay_alu instid0(VALU_DEP_4) | instskip(NEXT) | instid1(VALU_DEP_4)
	v_lshrrev_b32_e32 v194, 19, v14
	v_mul_lo_u16 v13, v189, 15
	s_delay_alu instid0(VALU_DEP_4) | instskip(NEXT) | instid1(VALU_DEP_4)
	v_lshlrev_b32_e32 v20, 6, v195
	v_lshlrev_b32_e32 v32, 6, v188
	s_delay_alu instid0(VALU_DEP_4) | instskip(NEXT) | instid1(VALU_DEP_4)
	v_mul_lo_u16 v12, v194, 15
	v_sub_nc_u16 v22, v218, v13
	s_clause 0x1
	global_load_b128 v[52:55], v20, s[8:9] offset:192
	global_load_b128 v[48:51], v32, s[8:9] offset:192
	v_sub_nc_u16 v21, v217, v12
	v_and_b32_e32 v197, 0xffff, v22
	s_clause 0x1
	global_load_b128 v[12:15], v20, s[8:9] offset:208
	global_load_b128 v[16:19], v32, s[8:9] offset:208
	v_and_b32_e32 v196, 0xffff, v21
	v_lshlrev_b32_e32 v72, 6, v197
	s_clause 0x2
	global_load_b128 v[24:27], v20, s[8:9] offset:224
	global_load_b128 v[28:31], v32, s[8:9] offset:224
	;; [unrolled: 1-line block ×3, first 2 shown]
	v_lshlrev_b32_e32 v64, 6, v196
	s_clause 0x8
	global_load_b128 v[32:35], v32, s[8:9] offset:240
	global_load_b128 v[36:39], v64, s[8:9] offset:192
	;; [unrolled: 1-line block ×9, first 2 shown]
	ds_load_2addr_b64 v[144:147], v202 offset0:110 offset1:235
	ds_load_2addr_b64 v[166:169], v203 offset0:92 offset1:217
	;; [unrolled: 1-line block ×4, first 2 shown]
	s_waitcnt vmcnt(23) lgkmcnt(3)
	v_mul_f64 v[84:85], v[144:145], v[82:83]
	v_mul_f64 v[82:83], v[76:77], v[82:83]
	s_waitcnt vmcnt(22)
	v_mul_f64 v[154:155], v[146:147], v[92:93]
	v_mul_f64 v[92:93], v[78:79], v[92:93]
	s_waitcnt vmcnt(21) lgkmcnt(2)
	v_mul_f64 v[158:159], v[166:167], v[96:97]
	v_mul_f64 v[96:97], v[86:87], v[96:97]
	s_waitcnt vmcnt(20)
	v_mul_f64 v[162:163], v[168:169], v[100:101]
	v_mul_f64 v[178:179], v[88:89], v[100:101]
	s_waitcnt vmcnt(18) lgkmcnt(1)
	v_mul_f64 v[233:234], v[225:226], v[172:173]
	s_waitcnt vmcnt(17) lgkmcnt(0)
	v_mul_f64 v[235:236], v[227:228], v[176:177]
	v_mul_f64 v[176:177], v[116:117], v[176:177]
	s_waitcnt vmcnt(16)
	v_mul_f64 v[237:238], v[229:230], v[221:222]
	v_mul_f64 v[221:222], v[118:119], v[221:222]
	;; [unrolled: 1-line block ×5, first 2 shown]
	ds_load_2addr_b64 v[100:103], v205 offset0:104 offset1:229
	s_waitcnt vmcnt(15) lgkmcnt(0)
	v_mul_f64 v[239:240], v[100:101], v[54:55]
	s_waitcnt vmcnt(14)
	v_mul_f64 v[241:242], v[102:103], v[50:51]
	v_fma_f64 v[156:157], v[76:77], v[80:81], -v[84:85]
	v_fma_f64 v[148:149], v[144:145], v[80:81], v[82:83]
	v_fma_f64 v[152:153], v[78:79], v[90:91], -v[154:155]
	v_fma_f64 v[144:145], v[146:147], v[90:91], v[92:93]
	;; [unrolled: 2-line block ×3, first 2 shown]
	ds_load_2addr_b64 v[84:87], v208 offset0:50 offset1:175
	v_fma_f64 v[166:167], v[88:89], v[98:99], -v[162:163]
	ds_load_2addr_b64 v[88:91], v212 offset0:98 offset1:223
	v_fma_f64 v[146:147], v[168:169], v[98:99], v[178:179]
	ds_load_2addr_b64 v[96:99], v211 offset0:62 offset1:187
	v_fma_f64 v[162:163], v[134:135], v[170:171], -v[233:234]
	v_fma_f64 v[158:159], v[116:117], v[174:175], -v[235:236]
	v_fma_f64 v[134:135], v[227:228], v[174:175], v[176:177]
	v_fma_f64 v[118:119], v[118:119], v[219:220], -v[237:238]
	v_fma_f64 v[116:117], v[229:230], v[219:220], v[221:222]
	ds_load_2addr_b64 v[92:95], v210 offset0:80 offset1:205
	ds_load_2addr_b64 v[80:83], v206 offset0:68 offset1:193
	s_waitcnt vmcnt(9)
	v_mul_f64 v[174:175], v[124:125], v[22:23]
	s_waitcnt vmcnt(8)
	v_mul_f64 v[176:177], v[126:127], v[34:35]
	v_fma_f64 v[168:169], v[132:133], v[150:151], -v[182:183]
	v_fma_f64 v[132:133], v[225:226], v[170:171], v[172:173]
	v_mul_f64 v[170:171], v[128:129], v[26:27]
	ds_load_2addr_b64 v[76:79], v207 offset0:86 offset1:211
	v_fma_f64 v[150:151], v[223:224], v[150:151], v[231:232]
	v_mul_f64 v[172:173], v[130:131], v[30:31]
	s_waitcnt lgkmcnt(5)
	v_mul_f64 v[243:244], v[84:85], v[22:23]
	v_mul_f64 v[245:246], v[86:87], v[34:35]
	s_waitcnt vmcnt(7) lgkmcnt(4)
	v_mul_f64 v[227:228], v[88:89], v[38:39]
	s_waitcnt vmcnt(6)
	v_mul_f64 v[235:236], v[90:91], v[42:43]
	s_waitcnt vmcnt(3) lgkmcnt(3)
	v_mul_f64 v[219:220], v[96:97], v[62:63]
	s_waitcnt vmcnt(2)
	v_mul_f64 v[221:222], v[98:99], v[70:71]
	v_mul_f64 v[62:63], v[104:105], v[62:63]
	;; [unrolled: 1-line block ×5, first 2 shown]
	s_waitcnt lgkmcnt(2)
	v_mul_f64 v[237:238], v[92:93], v[46:47]
	s_waitcnt lgkmcnt(1)
	v_mul_f64 v[225:226], v[80:81], v[26:27]
	v_mul_f64 v[233:234], v[82:83], v[30:31]
	;; [unrolled: 1-line block ×3, first 2 shown]
	v_fma_f64 v[50:51], v[140:141], v[52:53], -v[239:240]
	v_mul_f64 v[140:141], v[136:137], v[14:15]
	v_fma_f64 v[54:55], v[142:143], v[48:49], -v[241:242]
	s_waitcnt lgkmcnt(0)
	v_mul_f64 v[223:224], v[76:77], v[14:15]
	v_mul_f64 v[231:232], v[78:79], v[18:19]
	;; [unrolled: 1-line block ×3, first 2 shown]
	v_fma_f64 v[34:35], v[124:125], v[20:21], -v[243:244]
	v_mul_f64 v[124:125], v[120:121], v[38:39]
	v_fma_f64 v[38:39], v[120:121], v[36:37], -v[227:228]
	v_mul_f64 v[120:121], v[112:113], v[46:47]
	v_fma_f64 v[46:47], v[104:105], v[60:61], -v[219:220]
	v_fma_f64 v[22:23], v[106:107], v[68:69], -v[221:222]
	ds_load_2addr_b64 v[104:107], v213 offset0:44 offset1:169
	v_fma_f64 v[30:31], v[126:127], v[32:33], -v[245:246]
	v_mul_f64 v[126:127], v[122:123], v[42:43]
	v_fma_f64 v[14:15], v[122:123], v[40:41], -v[235:236]
	v_mul_f64 v[122:123], v[114:115], v[58:59]
	v_fma_f64 v[128:129], v[128:129], v[24:25], -v[225:226]
	v_fma_f64 v[130:131], v[130:131], v[28:29], -v[233:234]
	;; [unrolled: 1-line block ×4, first 2 shown]
	v_fma_f64 v[60:61], v[96:97], v[60:61], v[62:63]
	v_fma_f64 v[62:63], v[98:99], v[68:69], v[70:71]
	v_fma_f64 v[136:137], v[136:137], v[12:13], -v[223:224]
	v_fma_f64 v[138:139], v[138:139], v[16:17], -v[231:232]
	v_fma_f64 v[12:13], v[76:77], v[12:13], v[140:141]
	v_add_f64 v[76:77], v[0:1], v[156:157]
	v_add_f64 v[68:69], v[164:165], v[168:169]
	;; [unrolled: 1-line block ×3, first 2 shown]
	v_fma_f64 v[16:17], v[78:79], v[16:17], v[142:143]
	v_fma_f64 v[24:25], v[80:81], v[24:25], v[170:171]
	;; [unrolled: 1-line block ×3, first 2 shown]
	s_waitcnt vmcnt(1) lgkmcnt(0)
	v_mul_f64 v[26:27], v[104:105], v[66:67]
	v_mul_f64 v[66:67], v[108:109], v[66:67]
	v_add_f64 v[96:97], v[156:157], -v[164:165]
	v_add_f64 v[98:99], v[158:159], -v[168:169]
	v_fma_f64 v[32:33], v[86:87], v[32:33], v[176:177]
	v_fma_f64 v[52:53], v[100:101], v[52:53], v[182:183]
	;; [unrolled: 1-line block ×4, first 2 shown]
	v_add_f64 v[140:141], v[10:11], v[54:55]
	v_add_f64 v[174:175], v[166:167], -v[152:153]
	v_add_f64 v[176:177], v[162:163], -v[118:119]
	v_lshlrev_b32_e32 v113, 3, v196
	v_add_f64 v[80:81], v[50:51], v[34:35]
	v_fma_f64 v[36:37], v[88:89], v[36:37], v[124:125]
	v_add_f64 v[124:125], v[2:3], v[152:153]
	v_fma_f64 v[44:45], v[92:93], v[44:45], v[120:121]
	v_add_f64 v[120:121], v[152:153], -v[166:167]
	v_add_f64 v[142:143], v[4:5], v[38:39]
	v_add_f64 v[237:238], v[154:155], -v[150:151]
	v_add_f64 v[84:85], v[54:55], v[30:31]
	v_fma_f64 v[40:41], v[90:91], v[40:41], v[126:127]
	v_add_f64 v[126:127], v[8:9], v[50:51]
	v_fma_f64 v[56:57], v[94:95], v[56:57], v[122:123]
	v_add_f64 v[122:123], v[118:119], -v[162:163]
	v_add_f64 v[182:183], v[34:35], -v[128:129]
	v_add_f64 v[86:87], v[58:59], v[46:47]
	v_add_f64 v[90:91], v[18:19], v[22:23]
	v_add_f64 v[225:226], v[38:39], -v[58:59]
	v_add_f64 v[229:230], v[58:59], -v[38:39]
	v_add_f64 v[78:79], v[136:137], v[128:129]
	v_add_f64 v[82:83], v[138:139], v[130:131]
	v_add_f64 v[178:179], v[50:51], -v[136:137]
	v_add_f64 v[76:77], v[76:77], v[164:165]
	v_fma_f64 v[68:69], v[68:69], -0.5, v[0:1]
	v_fma_f64 v[0:1], v[70:71], -0.5, v[0:1]
	v_add_f64 v[219:220], v[30:31], -v[130:131]
	v_add_f64 v[221:222], v[138:139], -v[54:55]
	v_add_f64 v[223:224], v[130:131], -v[30:31]
	v_fma_f64 v[42:43], v[108:109], v[64:65], -v[26:27]
	s_waitcnt vmcnt(0)
	v_mul_f64 v[26:27], v[106:107], v[74:75]
	v_mul_f64 v[74:75], v[110:111], v[74:75]
	v_fma_f64 v[64:65], v[104:105], v[64:65], v[66:67]
	v_and_b32_e32 v108, 0xffff, v186
	v_lshlrev_b32_e32 v109, 3, v191
	v_add_f64 v[104:105], v[164:165], -v[156:157]
	v_add_f64 v[96:97], v[96:97], v[98:99]
	v_add_f64 v[98:99], v[144:145], -v[116:117]
	v_mul_u32_u24_e32 v108, 0x258, v108
	v_add_f64 v[170:171], v[6:7], v[14:15]
	v_add_f64 v[233:234], v[14:15], -v[18:19]
	v_add_f64 v[140:141], v[140:141], v[138:139]
	v_add_f64 v[174:175], v[174:175], v[176:177]
	v_add3_u32 v198, 0, v108, v109
	v_and_b32_e32 v108, 0xffff, v190
	v_lshlrev_b32_e32 v109, 3, v192
	v_add_f64 v[191:192], v[136:137], -v[50:51]
	v_add_f64 v[176:177], v[16:17], -v[28:29]
	;; [unrolled: 1-line block ×3, first 2 shown]
	v_mul_u32_u24_e32 v108, 0x258, v108
	v_add_f64 v[126:127], v[126:127], v[136:137]
	v_add_f64 v[142:143], v[142:143], v[58:59]
	;; [unrolled: 1-line block ×3, first 2 shown]
	v_add_f64 v[122:123], v[52:53], -v[20:21]
	v_add3_u32 v186, 0, v108, v109
	v_mul_u32_u24_e32 v108, 0x258, v193
	v_lshlrev_b32_e32 v109, 3, v195
	v_add_f64 v[195:196], v[54:55], -v[138:139]
	v_fma_f64 v[78:79], v[78:79], -0.5, v[8:9]
	v_fma_f64 v[8:9], v[80:81], -0.5, v[8:9]
	;; [unrolled: 1-line block ×5, first 2 shown]
	v_add_f64 v[84:85], v[148:149], -v[154:155]
	v_add_f64 v[178:179], v[178:179], v[182:183]
	v_add_f64 v[182:183], v[48:49], -v[32:33]
	v_add_f64 v[76:77], v[76:77], v[168:169]
	v_add_f64 v[88:89], v[38:39], v[42:43]
	v_fma_f64 v[26:27], v[110:111], v[72:73], -v[26:27]
	v_fma_f64 v[66:67], v[106:107], v[72:73], v[74:75]
	v_add_f64 v[72:73], v[166:167], v[162:163]
	v_add_f64 v[74:75], v[152:153], v[118:119]
	v_add_f64 v[106:107], v[168:169], -v[158:159]
	v_add3_u32 v110, 0, v108, v109
	v_mul_u32_u24_e32 v109, 0x258, v194
	v_add_f64 v[193:194], v[128:129], -v[34:35]
	v_add_f64 v[227:228], v[42:43], -v[46:47]
	v_add_f64 v[231:232], v[46:47], -v[42:43]
	v_add_f64 v[168:169], v[36:37], -v[64:65]
	v_mul_u32_u24_e32 v108, 0x258, v187
	v_mul_u32_u24_e32 v112, 0x258, v189
	v_lshlrev_b32_e32 v111, 3, v188
	v_lshlrev_b32_e32 v114, 3, v197
	v_add3_u32 v109, 0, v109, v113
	v_add_f64 v[170:171], v[170:171], v[18:19]
	v_add_f64 v[136:137], v[136:137], -v[128:129]
	v_add3_u32 v111, 0, v108, v111
	v_add3_u32 v108, 0, v112, v114
	ds_load_2addr_b64 v[112:115], v199 offset1:125
	v_add_f64 v[126:127], v[126:127], v[128:129]
	v_add_f64 v[128:129], v[140:141], v[130:131]
	v_add_f64 v[138:139], v[138:139], -v[130:131]
	v_add_f64 v[156:157], v[156:157], -v[158:159]
	v_add_f64 v[58:59], v[58:59], -v[46:47]
	v_add_f64 v[46:47], v[142:143], v[46:47]
	v_add_f64 v[195:196], v[195:196], v[219:220]
	;; [unrolled: 1-line block ×3, first 2 shown]
	v_fma_f64 v[221:222], v[237:238], s[16:17], v[0:1]
	v_fma_f64 v[0:1], v[237:238], s[14:15], v[0:1]
	v_add_f64 v[223:224], v[56:57], -v[62:63]
	v_fma_f64 v[130:131], v[176:177], s[16:17], v[10:11]
	v_fma_f64 v[10:11], v[176:177], s[14:15], v[10:11]
	v_add_f64 v[94:95], v[154:155], v[150:151]
	v_fma_f64 v[140:141], v[182:183], s[14:15], v[80:81]
	v_fma_f64 v[80:81], v[182:183], s[16:17], v[80:81]
	v_fma_f64 v[4:5], v[88:89], -0.5, v[4:5]
	v_add_f64 v[92:93], v[14:15], v[26:27]
	v_add_f64 v[82:83], v[22:23], -v[26:27]
	v_fma_f64 v[70:71], v[72:73], -0.5, v[2:3]
	v_fma_f64 v[2:3], v[74:75], -0.5, v[2:3]
	v_add_f64 v[74:75], v[148:149], -v[134:135]
	v_add_f64 v[72:73], v[18:19], -v[14:15]
	;; [unrolled: 1-line block ×3, first 2 shown]
	v_fma_f64 v[88:89], v[90:91], -0.5, v[6:7]
	v_add_f64 v[90:91], v[124:125], v[166:167]
	v_add_f64 v[124:125], v[134:135], -v[150:151]
	v_add_f64 v[104:105], v[104:105], v[106:107]
	v_add_f64 v[106:107], v[12:13], -v[24:25]
	;; [unrolled: 2-line block ×3, first 2 shown]
	v_add_f64 v[225:226], v[225:226], v[227:228]
	v_add_f64 v[227:228], v[229:230], v[231:232]
	v_add_f64 v[231:232], v[40:41], -v[66:67]
	s_waitcnt lgkmcnt(0)
	v_add_f64 v[172:173], v[112:113], v[148:149]
	v_add_f64 v[166:167], v[166:167], -v[162:163]
	v_add_f64 v[76:77], v[76:77], v[158:159]
	v_fma_f64 v[158:159], v[168:169], s[14:15], v[86:87]
	v_fma_f64 v[86:87], v[168:169], s[16:17], v[86:87]
	v_add_f64 v[170:171], v[170:171], v[22:23]
	v_add_f64 v[152:153], v[152:153], -v[118:119]
	v_add_f64 v[50:51], v[50:51], -v[34:35]
	;; [unrolled: 1-line block ×4, first 2 shown]
	v_add_f64 v[34:35], v[126:127], v[34:35]
	v_add_f64 v[126:127], v[36:37], v[64:65]
	;; [unrolled: 1-line block ×5, first 2 shown]
	v_fma_f64 v[130:131], v[182:183], s[10:11], v[130:131]
	v_fma_f64 v[10:11], v[182:183], s[12:13], v[10:11]
	v_add_f64 v[182:183], v[16:17], v[28:29]
	v_fma_f64 v[140:141], v[176:177], s[10:11], v[140:141]
	v_fma_f64 v[80:81], v[176:177], s[12:13], v[80:81]
	v_add_f64 v[176:177], v[48:49], v[32:33]
	v_fma_f64 v[6:7], v[92:93], -0.5, v[6:7]
	v_add_f64 v[92:93], v[146:147], -v[132:133]
	v_add_f64 v[46:47], v[40:41], v[66:67]
	ds_load_2addr_b64 v[100:103], v204 offset0:122 offset1:247
	ds_load_2addr_b64 v[187:190], v209 offset0:116 offset1:241
	v_fma_f64 v[229:230], v[74:75], s[14:15], v[68:69]
	v_fma_f64 v[68:69], v[74:75], s[16:17], v[68:69]
	v_add_f64 v[72:73], v[72:73], v[82:83]
	v_fma_f64 v[82:83], v[98:99], s[14:15], v[70:71]
	v_add_f64 v[90:91], v[90:91], v[162:163]
	v_add_f64 v[162:163], v[233:234], v[235:236]
	v_fma_f64 v[70:71], v[98:99], s[16:17], v[70:71]
	v_add_f64 v[84:85], v[84:85], v[124:125]
	v_fma_f64 v[124:125], v[106:107], s[16:17], v[8:9]
	v_fma_f64 v[235:236], v[122:123], s[14:15], v[78:79]
	;; [unrolled: 1-line block ×8, first 2 shown]
	v_add_f64 v[172:173], v[172:173], v[154:155]
	v_add_f64 v[154:155], v[154:155], -v[148:149]
	v_add_f64 v[148:149], v[148:149], v[134:135]
	v_fma_f64 v[158:159], v[193:194], s[10:11], v[158:159]
	v_fma_f64 v[86:87], v[193:194], s[12:13], v[86:87]
	v_fma_f64 v[94:95], v[94:95], -0.5, v[112:113]
	s_waitcnt lgkmcnt(1)
	v_add_f64 v[193:194], v[100:101], v[52:53]
	s_waitcnt lgkmcnt(0)
	s_barrier
	buffer_gl0_inv
	v_fma_f64 v[126:127], v[126:127], -0.5, v[187:188]
	v_fma_f64 v[128:129], v[128:129], -0.5, v[189:190]
	v_fma_f64 v[130:131], v[219:220], s[4:5], v[130:131]
	v_fma_f64 v[10:11], v[219:220], s[4:5], v[10:11]
	;; [unrolled: 1-line block ×13, first 2 shown]
	v_add_f64 v[90:91], v[90:91], v[118:119]
	v_fma_f64 v[70:71], v[92:93], s[12:13], v[70:71]
	v_add_f64 v[118:119], v[146:147], v[132:133]
	v_fma_f64 v[124:125], v[122:123], s[10:11], v[124:125]
	v_fma_f64 v[235:236], v[106:107], s[10:11], v[235:236]
	;; [unrolled: 1-line block ×6, first 2 shown]
	v_add_f64 v[92:93], v[12:13], v[24:25]
	v_add_f64 v[122:123], v[52:53], v[20:21]
	v_fma_f64 v[221:222], v[104:105], s[4:5], v[221:222]
	v_fma_f64 v[0:1], v[104:105], s[4:5], v[0:1]
	v_fma_f64 v[112:113], v[148:149], -0.5, v[112:113]
	v_add_f64 v[148:149], v[170:171], v[26:27]
	v_fma_f64 v[158:159], v[225:226], s[4:5], v[158:159]
	v_fma_f64 v[86:87], v[225:226], s[4:5], v[86:87]
	v_add_f64 v[168:169], v[114:115], v[144:145]
	v_add_f64 v[172:173], v[172:173], v[150:151]
	v_add_f64 v[150:151], v[150:151], -v[134:135]
	v_add_f64 v[104:105], v[187:188], v[36:37]
	v_fma_f64 v[46:47], v[46:47], -0.5, v[189:190]
	v_fma_f64 v[106:107], v[156:157], s[16:17], v[94:95]
	v_fma_f64 v[94:95], v[156:157], s[14:15], v[94:95]
	;; [unrolled: 1-line block ×6, first 2 shown]
	v_add_f64 v[98:99], v[144:145], v[116:117]
	v_fma_f64 v[229:230], v[96:97], s[4:5], v[229:230]
	v_fma_f64 v[237:238], v[223:224], s[10:11], v[237:238]
	;; [unrolled: 1-line block ×3, first 2 shown]
	v_add_f64 v[223:224], v[44:45], v[60:61]
	v_fma_f64 v[68:69], v[96:97], s[4:5], v[68:69]
	v_fma_f64 v[82:83], v[120:121], s[4:5], v[82:83]
	;; [unrolled: 1-line block ×9, first 2 shown]
	v_fma_f64 v[118:119], v[118:119], -0.5, v[114:115]
	v_fma_f64 v[92:93], v[92:93], -0.5, v[100:101]
	v_add_f64 v[231:232], v[102:103], v[48:49]
	v_fma_f64 v[100:101], v[122:123], -0.5, v[100:101]
	v_add_f64 v[96:97], v[189:190], v[40:41]
	v_add_f64 v[134:135], v[172:173], v[134:135]
	;; [unrolled: 1-line block ×3, first 2 shown]
	v_fma_f64 v[154:155], v[164:165], s[14:15], v[112:113]
	v_fma_f64 v[112:113], v[164:165], s[16:17], v[112:113]
	;; [unrolled: 1-line block ×8, first 2 shown]
	v_fma_f64 v[98:99], v[98:99], -0.5, v[114:115]
	v_fma_f64 v[114:115], v[182:183], -0.5, v[102:103]
	v_fma_f64 v[174:175], v[162:163], s[4:5], v[237:238]
	v_fma_f64 v[72:73], v[162:163], s[4:5], v[88:89]
	v_fma_f64 v[102:103], v[176:177], -0.5, v[102:103]
	v_fma_f64 v[122:123], v[223:224], -0.5, v[187:188]
	ds_store_2addr_b64 v198, v[76:77], v[229:230] offset1:15
	ds_store_2addr_b64 v198, v[221:222], v[0:1] offset0:30 offset1:45
	ds_store_b64 v198, v[68:69] offset:480
	ds_store_2addr_b64 v186, v[90:91], v[82:83] offset1:15
	ds_store_2addr_b64 v186, v[170:171], v[2:3] offset0:30 offset1:45
	ds_store_b64 v186, v[70:71] offset:480
	ds_store_2addr_b64 v110, v[34:35], v[124:125] offset1:15
	ds_store_2addr_b64 v110, v[120:121], v[8:9] offset0:30 offset1:45
	ds_store_b64 v110, v[78:79] offset:480
	ds_store_2addr_b64 v111, v[30:31], v[140:141] offset1:15
	ds_store_2addr_b64 v111, v[130:131], v[10:11] offset0:30 offset1:45
	ds_store_b64 v111, v[80:81] offset:480
	ds_store_2addr_b64 v109, v[42:43], v[158:159] offset1:15
	ds_store_2addr_b64 v109, v[142:143], v[4:5] offset0:30 offset1:45
	ds_store_b64 v109, v[86:87] offset:480
	ds_store_2addr_b64 v108, v[148:149], v[174:175] offset1:15
	ds_store_2addr_b64 v108, v[74:75], v[6:7] offset0:30 offset1:45
	ds_store_b64 v108, v[72:73] offset:480
	v_add_f64 v[0:1], v[14:15], -v[26:27]
	v_add_f64 v[2:3], v[18:19], -v[22:23]
	;; [unrolled: 1-line block ×5, first 2 shown]
	v_add_f64 v[146:147], v[168:169], v[146:147]
	v_fma_f64 v[168:169], v[152:153], s[16:17], v[118:119]
	v_fma_f64 v[4:5], v[152:153], s[14:15], v[118:119]
	v_add_f64 v[14:15], v[52:53], -v[12:13]
	v_add_f64 v[18:19], v[20:21], -v[24:25]
	v_fma_f64 v[26:27], v[50:51], s[16:17], v[92:93]
	v_fma_f64 v[30:31], v[50:51], s[14:15], v[92:93]
	v_add_f64 v[22:23], v[193:194], v[12:13]
	v_fma_f64 v[34:35], v[136:137], s[14:15], v[100:101]
	v_fma_f64 v[42:43], v[136:137], s[16:17], v[100:101]
	v_add_f64 v[68:69], v[48:49], -v[16:17]
	v_add_f64 v[70:71], v[32:33], -v[28:29]
	v_add_f64 v[72:73], v[231:232], v[16:17]
	v_add_f64 v[16:17], v[16:17], -v[48:49]
	v_fma_f64 v[48:49], v[54:55], s[16:17], v[114:115]
	v_fma_f64 v[6:7], v[166:167], s[14:15], v[98:99]
	v_add_f64 v[10:11], v[132:133], -v[116:117]
	v_add_f64 v[12:13], v[12:13], -v[52:53]
	;; [unrolled: 1-line block ×3, first 2 shown]
	v_fma_f64 v[76:77], v[138:139], s[14:15], v[102:103]
	v_fma_f64 v[78:79], v[138:139], s[16:17], v[102:103]
	v_add_f64 v[80:81], v[28:29], -v[32:33]
	v_fma_f64 v[8:9], v[166:167], s[16:17], v[98:99]
	v_fma_f64 v[74:75], v[54:55], s[14:15], v[114:115]
	v_add_f64 v[82:83], v[36:37], -v[44:45]
	v_add_f64 v[86:87], v[64:65], -v[60:61]
	v_add_f64 v[90:91], v[104:105], v[44:45]
	v_add_f64 v[36:37], v[44:45], -v[36:37]
	v_fma_f64 v[44:45], v[38:39], s[16:17], v[122:123]
	v_fma_f64 v[92:93], v[38:39], s[14:15], v[122:123]
	;; [unrolled: 1-line block ×4, first 2 shown]
	v_add_f64 v[102:103], v[60:61], -v[64:65]
	v_add_f64 v[104:105], v[40:41], -v[56:57]
	;; [unrolled: 1-line block ×3, first 2 shown]
	v_add_f64 v[96:97], v[96:97], v[56:57]
	v_add_f64 v[40:41], v[56:57], -v[40:41]
	v_add_f64 v[56:57], v[62:63], -v[66:67]
	v_fma_f64 v[118:119], v[0:1], s[16:17], v[128:129]
	v_fma_f64 v[120:121], v[2:3], s[14:15], v[46:47]
	;; [unrolled: 1-line block ×4, first 2 shown]
	v_add_f64 v[88:89], v[88:89], v[162:163]
	v_fma_f64 v[126:127], v[166:167], s[12:13], v[168:169]
	v_fma_f64 v[128:129], v[166:167], s[10:11], v[4:5]
	v_add_f64 v[14:15], v[14:15], v[18:19]
	v_fma_f64 v[18:19], v[136:137], s[12:13], v[26:27]
	v_fma_f64 v[26:27], v[136:137], s[10:11], v[30:31]
	;; [unrolled: 1-line block ×4, first 2 shown]
	v_add_f64 v[22:23], v[22:23], v[24:25]
	v_fma_f64 v[24:25], v[50:51], s[12:13], v[34:35]
	v_fma_f64 v[34:35], v[50:51], s[10:11], v[42:43]
	v_add_f64 v[50:51], v[68:69], v[70:71]
	v_fma_f64 v[48:49], v[138:139], s[12:13], v[48:49]
	v_add_f64 v[68:69], v[72:73], v[28:29]
	v_add_f64 v[130:131], v[146:147], v[132:133]
	;; [unrolled: 1-line block ×3, first 2 shown]
	v_fma_f64 v[132:133], v[152:153], s[12:13], v[6:7]
	v_add_f64 v[12:13], v[12:13], v[52:53]
	v_add_f64 v[16:17], v[16:17], v[80:81]
	v_fma_f64 v[70:71], v[54:55], s[12:13], v[76:77]
	v_fma_f64 v[54:55], v[54:55], s[10:11], v[78:79]
	;; [unrolled: 1-line block ×4, first 2 shown]
	v_add_f64 v[72:73], v[82:83], v[86:87]
	v_fma_f64 v[44:45], v[58:59], s[12:13], v[44:45]
	v_add_f64 v[60:61], v[90:91], v[60:61]
	v_fma_f64 v[58:59], v[58:59], s[10:11], v[92:93]
	v_fma_f64 v[76:77], v[38:39], s[12:13], v[98:99]
	v_add_f64 v[74:75], v[36:37], v[102:103]
	v_fma_f64 v[78:79], v[38:39], s[10:11], v[100:101]
	v_add_f64 v[80:81], v[104:105], v[114:115]
	v_add_f64 v[62:63], v[96:97], v[62:63]
	v_fma_f64 v[106:107], v[84:85], s[4:5], v[106:107]
	v_add_f64 v[56:57], v[40:41], v[56:57]
	v_fma_f64 v[82:83], v[2:3], s[12:13], v[118:119]
	v_fma_f64 v[86:87], v[0:1], s[12:13], v[120:121]
	;; [unrolled: 1-line block ×7, first 2 shown]
	s_waitcnt lgkmcnt(0)
	v_fma_f64 v[128:129], v[14:15], s[4:5], v[18:19]
	v_fma_f64 v[136:137], v[14:15], s[4:5], v[26:27]
	;; [unrolled: 1-line block ×4, first 2 shown]
	v_add_f64 v[126:127], v[22:23], v[20:21]
	s_barrier
	buffer_gl0_inv
	ds_load_2addr_b64 v[4:7], v199 offset1:125
	ds_load_2addr_b64 v[0:3], v204 offset0:122 offset1:247
	ds_load_2addr_b64 v[100:103], v202 offset0:110 offset1:235
	;; [unrolled: 1-line block ×5, first 2 shown]
	v_fma_f64 v[48:49], v[50:51], s[4:5], v[48:49]
	v_add_f64 v[68:69], v[68:69], v[32:33]
	v_add_f64 v[94:95], v[130:131], v[116:117]
	ds_load_2addr_b64 v[112:115], v200 offset0:74 offset1:199
	v_fma_f64 v[104:105], v[10:11], s[4:5], v[132:133]
	v_fma_f64 v[130:131], v[12:13], s[4:5], v[24:25]
	;; [unrolled: 1-line block ×7, first 2 shown]
	ds_load_2addr_b64 v[24:27], v206 offset0:68 offset1:193
	v_fma_f64 v[44:45], v[72:73], s[4:5], v[44:45]
	v_add_f64 v[52:53], v[60:61], v[64:65]
	v_fma_f64 v[58:59], v[72:73], s[4:5], v[58:59]
	ds_load_2addr_b64 v[116:119], v201 offset0:56 offset1:181
	v_fma_f64 v[60:61], v[74:75], s[4:5], v[76:77]
	v_fma_f64 v[64:65], v[74:75], s[4:5], v[78:79]
	v_mul_lo_u16 v74, 0xdb, v185
	v_add_f64 v[62:63], v[62:63], v[66:67]
	v_add_nc_u32_e32 v75, 0xffffffb5, v255
	ds_load_2addr_b64 v[32:35], v208 offset0:50 offset1:175
	ds_load_2addr_b64 v[122:125], v209 offset0:116 offset1:241
	;; [unrolled: 1-line block ×6, first 2 shown]
	v_fma_f64 v[66:67], v[80:81], s[4:5], v[82:83]
	v_fma_f64 v[72:73], v[56:57], s[4:5], v[86:87]
	v_fma_f64 v[46:47], v[56:57], s[4:5], v[46:47]
	v_fma_f64 v[56:57], v[80:81], s[4:5], v[90:91]
	v_lshrrev_b16 v219, 14, v74
	s_waitcnt lgkmcnt(0)
	s_barrier
	buffer_gl0_inv
	ds_store_2addr_b64 v198, v[134:135], v[106:107] offset1:15
	ds_store_2addr_b64 v198, v[92:93], v[96:97] offset0:30 offset1:45
	ds_store_b64 v198, v[84:85] offset:480
	ds_store_2addr_b64 v186, v[94:95], v[98:99] offset1:15
	ds_store_2addr_b64 v186, v[104:105], v[120:121] offset0:30 offset1:45
	ds_store_b64 v186, v[88:89] offset:480
	ds_store_2addr_b64 v110, v[126:127], v[128:129] offset1:15
	ds_store_2addr_b64 v110, v[130:131], v[132:133] offset0:30 offset1:45
	v_cndmask_b32_e64 v222, v75, v255, s0
	ds_store_b64 v110, v[136:137] offset:480
	ds_store_2addr_b64 v111, v[68:69], v[48:49] offset1:15
	ds_store_2addr_b64 v111, v[70:71], v[54:55] offset0:30 offset1:45
	v_mul_lo_u16 v48, 0x4b, v219
	v_mov_b32_e32 v183, 0
	ds_store_b64 v111, v[50:51] offset:480
	v_mul_i32_i24_e32 v182, 9, v222
	ds_store_2addr_b64 v109, v[52:53], v[44:45] offset1:15
	v_sub_nc_u16 v48, v214, v48
	ds_store_2addr_b64 v109, v[60:61], v[64:65] offset0:30 offset1:45
	ds_store_b64 v109, v[58:59] offset:480
	v_lshlrev_b64 v[44:45], 4, v[182:183]
	v_and_b32_e32 v182, 0xff, v48
	ds_store_2addr_b64 v108, v[62:63], v[66:67] offset1:15
	ds_store_2addr_b64 v108, v[72:73], v[46:47] offset0:30 offset1:45
	ds_store_b64 v108, v[56:57] offset:480
	v_mul_u32_u24_e32 v46, 9, v182
	v_add_co_u32 v44, s0, s8, v44
	s_delay_alu instid0(VALU_DEP_1) | instskip(NEXT) | instid1(VALU_DEP_3)
	v_add_co_ci_u32_e64 v45, s0, s9, v45, s0
	v_lshlrev_b32_e32 v88, 4, v46
	s_waitcnt lgkmcnt(0)
	s_barrier
	buffer_gl0_inv
	s_clause 0x3
	global_load_b128 v[126:129], v[44:45], off offset:1168
	global_load_b128 v[136:139], v[44:45], off offset:1200
	global_load_b128 v[130:133], v88, s[8:9] offset:1168
	global_load_b128 v[140:143], v88, s[8:9] offset:1200
	v_mul_u32_u24_e32 v46, 0xb4e9, v184
	s_clause 0x3
	global_load_b128 v[148:151], v[44:45], off offset:1232
	global_load_b128 v[154:157], v88, s[8:9] offset:1232
	global_load_b128 v[168:171], v[44:45], off offset:1264
	global_load_b128 v[172:175], v88, s[8:9] offset:1264
	v_cmp_lt_u32_e64 s0, 0x4a, v255
	v_lshlrev_b32_e32 v182, 3, v182
	v_lshrrev_b32_e32 v46, 16, v46
	s_delay_alu instid0(VALU_DEP_1) | instskip(NEXT) | instid1(VALU_DEP_1)
	v_sub_nc_u16 v47, v215, v46
	v_lshrrev_b16 v47, 1, v47
	s_delay_alu instid0(VALU_DEP_1) | instskip(NEXT) | instid1(VALU_DEP_1)
	v_add_nc_u16 v46, v47, v46
	v_lshrrev_b16 v221, 6, v46
	s_delay_alu instid0(VALU_DEP_1) | instskip(SKIP_1) | instid1(VALU_DEP_2)
	v_mul_lo_u16 v46, 0x4b, v221
	v_and_b32_e32 v198, 0xffff, v221
	v_sub_nc_u16 v46, v215, v46
	s_delay_alu instid0(VALU_DEP_1) | instskip(NEXT) | instid1(VALU_DEP_1)
	v_and_b32_e32 v220, 0xffff, v46
	v_mul_u32_u24_e32 v46, 9, v220
	s_delay_alu instid0(VALU_DEP_1)
	v_lshlrev_b32_e32 v96, 4, v46
	s_clause 0x12
	global_load_b128 v[184:187], v88, s[8:9] offset:1152
	global_load_b128 v[190:193], v96, s[8:9] offset:1152
	global_load_b128 v[223:226], v[44:45], off offset:1184
	global_load_b128 v[80:83], v96, s[8:9] offset:1168
	global_load_b128 v[84:87], v[44:45], off offset:1216
	;; [unrolled: 2-line block ×3, first 2 shown]
	global_load_b128 v[104:107], v[44:45], off offset:1280
	global_load_b128 v[52:55], v96, s[8:9] offset:1232
	global_load_b128 v[44:47], v[44:45], off offset:1152
	global_load_b128 v[48:51], v88, s[8:9] offset:1184
	global_load_b128 v[76:79], v96, s[8:9] offset:1264
	;; [unrolled: 1-line block ×9, first 2 shown]
	ds_load_2addr_b64 v[162:165], v202 offset0:110 offset1:235
	ds_load_2addr_b64 v[176:179], v203 offset0:92 offset1:217
	;; [unrolled: 1-line block ×5, first 2 shown]
	s_waitcnt vmcnt(26) lgkmcnt(4)
	v_mul_f64 v[120:121], v[162:163], v[128:129]
	v_mul_f64 v[128:129], v[100:101], v[128:129]
	s_waitcnt vmcnt(24)
	v_mul_f64 v[134:135], v[164:165], v[132:133]
	v_mul_f64 v[132:133], v[102:103], v[132:133]
	s_waitcnt lgkmcnt(3)
	v_mul_f64 v[152:153], v[176:177], v[138:139]
	v_mul_f64 v[138:139], v[40:41], v[138:139]
	s_waitcnt vmcnt(22) lgkmcnt(2)
	v_mul_f64 v[235:236], v[194:195], v[150:151]
	v_mul_f64 v[150:151], v[112:113], v[150:151]
	;; [unrolled: 1-line block ×4, first 2 shown]
	s_waitcnt vmcnt(21)
	v_mul_f64 v[237:238], v[196:197], v[156:157]
	s_waitcnt vmcnt(19) lgkmcnt(1)
	v_mul_f64 v[239:240], v[229:230], v[174:175]
	v_mul_f64 v[241:242], v[118:119], v[174:175]
	v_fma_f64 v[144:145], v[100:101], v[126:127], -v[120:121]
	v_fma_f64 v[162:163], v[162:163], v[126:127], v[128:129]
	v_fma_f64 v[146:147], v[102:103], v[130:131], -v[134:135]
	v_fma_f64 v[142:143], v[164:165], v[130:131], v[132:133]
	ds_load_2addr_b64 v[132:135], v205 offset0:104 offset1:229
	v_mul_f64 v[126:127], v[227:228], v[170:171]
	v_mul_f64 v[170:171], v[116:117], v[170:171]
	v_fma_f64 v[158:159], v[176:177], v[136:137], v[138:139]
	s_waitcnt vmcnt(17) lgkmcnt(1)
	v_mul_f64 v[247:248], v[233:234], v[192:193]
	v_mul_f64 v[249:250], v[124:125], v[192:193]
	v_fma_f64 v[138:139], v[194:195], v[148:149], v[150:151]
	v_mul_f64 v[120:121], v[114:115], v[156:157]
	v_mul_f64 v[243:244], v[231:232], v[186:187]
	;; [unrolled: 1-line block ×3, first 2 shown]
	v_fma_f64 v[164:165], v[40:41], v[136:137], -v[152:153]
	v_fma_f64 v[152:153], v[112:113], v[148:149], -v[235:236]
	s_waitcnt vmcnt(14)
	v_mul_f64 v[176:177], v[30:31], v[86:87]
	v_fma_f64 v[166:167], v[42:43], v[140:141], -v[166:167]
	ds_load_2addr_b64 v[128:131], v207 offset0:86 offset1:211
	ds_load_2addr_b64 v[100:103], v206 offset0:68 offset1:193
	v_fma_f64 v[156:157], v[114:115], v[154:155], -v[237:238]
	ds_load_2addr_b64 v[112:115], v208 offset0:50 offset1:175
	ds_load_2addr_b64 v[40:43], v204 offset0:122 offset1:247
	v_fma_f64 v[150:151], v[118:119], v[172:173], -v[239:240]
	s_waitcnt lgkmcnt(4)
	v_mul_f64 v[194:195], v[132:133], v[82:83]
	v_mul_f64 v[235:236], v[134:135], v[225:226]
	;; [unrolled: 1-line block ×3, first 2 shown]
	v_fma_f64 v[140:141], v[178:179], v[140:141], v[188:189]
	v_mul_f64 v[192:193], v[36:37], v[82:83]
	s_waitcnt vmcnt(13)
	v_mul_f64 v[188:189], v[28:29], v[94:95]
	v_fma_f64 v[82:83], v[229:230], v[172:173], v[241:242]
	s_waitcnt vmcnt(12)
	v_mul_f64 v[172:173], v[26:27], v[110:111]
	s_waitcnt vmcnt(6)
	v_mul_f64 v[229:230], v[22:23], v[74:75]
	s_waitcnt lgkmcnt(3)
	v_mul_f64 v[174:175], v[130:131], v[86:87]
	v_mul_f64 v[186:187], v[128:129], v[94:95]
	s_waitcnt lgkmcnt(1)
	v_mul_f64 v[178:179], v[114:115], v[106:107]
	v_fma_f64 v[148:149], v[116:117], v[168:169], -v[126:127]
	ds_load_2addr_b64 v[116:119], v212 offset0:98 offset1:223
	v_fma_f64 v[86:87], v[227:228], v[168:169], v[170:171]
	v_mul_f64 v[170:171], v[102:103], v[110:111]
	v_fma_f64 v[110:111], v[124:125], v[190:191], -v[247:248]
	v_fma_f64 v[94:95], v[233:234], v[190:191], v[249:250]
	s_waitcnt lgkmcnt(1)
	v_mul_f64 v[190:191], v[42:43], v[46:47]
	v_fma_f64 v[136:137], v[196:197], v[154:155], v[120:121]
	v_fma_f64 v[168:169], v[122:123], v[184:185], -v[243:244]
	v_fma_f64 v[154:155], v[231:232], v[184:185], v[245:246]
	v_mul_f64 v[184:185], v[34:35], v[106:107]
	v_mul_f64 v[196:197], v[100:101], v[54:55]
	ds_load_2addr_b64 v[120:123], v210 offset0:80 offset1:205
	ds_load_2addr_b64 v[124:127], v211 offset0:62 offset1:187
	v_fma_f64 v[36:37], v[36:37], v[80:81], -v[194:195]
	v_mul_f64 v[194:195], v[112:113], v[78:79]
	v_fma_f64 v[106:107], v[134:135], v[223:224], v[225:226]
	s_waitcnt lgkmcnt(2)
	v_mul_f64 v[134:135], v[116:117], v[50:51]
	v_mul_f64 v[227:228], v[118:119], v[74:75]
	v_fma_f64 v[74:75], v[130:131], v[84:85], v[176:177]
	v_mul_f64 v[130:131], v[24:25], v[54:55]
	v_mul_f64 v[78:79], v[32:33], v[78:79]
	v_fma_f64 v[38:39], v[38:39], v[223:224], -v[235:236]
	ds_load_2addr_b64 v[223:226], v213 offset0:44 offset1:169
	v_fma_f64 v[80:81], v[132:133], v[80:81], v[192:193]
	v_mul_f64 v[192:193], v[20:21], v[50:51]
	s_waitcnt vmcnt(3)
	v_mul_f64 v[176:177], v[12:13], v[62:63]
	s_waitcnt lgkmcnt(2)
	v_mul_f64 v[231:232], v[120:121], v[70:71]
	v_fma_f64 v[132:133], v[30:31], v[84:85], -v[174:175]
	v_fma_f64 v[50:51], v[28:29], v[92:93], -v[186:187]
	v_fma_f64 v[30:31], v[128:129], v[92:93], v[188:189]
	v_mul_f64 v[128:129], v[2:3], v[46:47]
	v_fma_f64 v[28:29], v[102:103], v[108:109], v[172:173]
	v_mul_f64 v[70:71], v[16:17], v[70:71]
	v_mul_f64 v[84:85], v[122:123], v[66:67]
	s_waitcnt lgkmcnt(1)
	v_mul_f64 v[174:175], v[124:125], v[62:63]
	v_fma_f64 v[54:55], v[26:27], v[108:109], -v[170:171]
	s_waitcnt vmcnt(2)
	v_mul_f64 v[102:103], v[126:127], v[58:59]
	v_mul_f64 v[108:109], v[14:15], v[58:59]
	v_fma_f64 v[172:173], v[2:3], v[44:45], -v[190:191]
	v_fma_f64 v[46:47], v[34:35], v[104:105], -v[178:179]
	v_mul_f64 v[66:67], v[18:19], v[66:67]
	v_add_f64 v[188:189], v[4:5], v[144:145]
	v_fma_f64 v[26:27], v[114:115], v[104:105], v[184:185]
	s_waitcnt vmcnt(1) lgkmcnt(0)
	v_mul_f64 v[104:105], v[223:224], v[90:91]
	v_mul_f64 v[114:115], v[8:9], v[90:91]
	v_fma_f64 v[24:25], v[24:25], v[52:53], -v[196:197]
	s_waitcnt vmcnt(0)
	v_mul_f64 v[170:171], v[225:226], v[98:99]
	v_mul_f64 v[98:99], v[10:11], v[98:99]
	ds_load_2addr_b64 v[90:93], v199 offset1:125
	v_add_f64 v[190:191], v[6:7], v[146:147]
	s_waitcnt lgkmcnt(0)
	s_barrier
	v_fma_f64 v[2:3], v[32:33], v[76:77], -v[194:195]
	v_cndmask_b32_e64 v32, 0, 0x1770, s0
	v_lshlrev_b32_e32 v33, 3, v222
	v_fma_f64 v[134:135], v[20:21], v[48:49], -v[134:135]
	v_add_f64 v[194:195], v[150:151], -v[156:157]
	v_add_f64 v[184:185], v[74:75], -v[106:107]
	v_fma_f64 v[20:21], v[112:113], v[76:77], v[78:79]
	v_add3_u32 v62, 0, v32, v33
	v_fma_f64 v[32:33], v[100:101], v[52:53], v[130:131]
	v_fma_f64 v[52:53], v[118:119], v[72:73], v[229:230]
	;; [unrolled: 1-line block ×3, first 2 shown]
	v_fma_f64 v[48:49], v[22:23], v[72:73], -v[227:228]
	v_fma_f64 v[72:73], v[16:17], v[68:69], -v[231:232]
	v_fma_f64 v[16:17], v[124:125], v[60:61], v[176:177]
	v_add_f64 v[78:79], v[164:165], v[152:153]
	v_add_f64 v[112:113], v[158:159], v[138:139]
	v_fma_f64 v[42:43], v[42:43], v[44:45], v[128:129]
	v_add_f64 v[116:117], v[140:141], v[136:137]
	v_fma_f64 v[22:23], v[120:121], v[68:69], v[70:71]
	v_fma_f64 v[58:59], v[18:19], v[64:65], -v[84:85]
	v_fma_f64 v[44:45], v[12:13], v[60:61], -v[174:175]
	v_add_f64 v[69:70], v[144:145], v[148:149]
	v_fma_f64 v[34:35], v[14:15], v[56:57], -v[102:103]
	v_fma_f64 v[14:15], v[126:127], v[56:57], v[108:109]
	v_add_f64 v[84:85], v[166:167], v[156:157]
	v_add_f64 v[60:61], v[38:39], v[46:47]
	v_fma_f64 v[18:19], v[122:123], v[64:65], v[66:67]
	v_add_f64 v[63:64], v[132:133], v[54:55]
	v_add_f64 v[67:68], v[74:75], v[28:29]
	v_fma_f64 v[56:57], v[8:9], v[88:89], -v[104:105]
	v_fma_f64 v[12:13], v[223:224], v[88:89], v[114:115]
	v_add_f64 v[88:89], v[146:147], v[150:151]
	v_fma_f64 v[10:11], v[10:11], v[96:97], -v[170:171]
	v_fma_f64 v[8:9], v[225:226], v[96:97], v[98:99]
	v_add_f64 v[96:97], v[106:107], v[26:27]
	v_add_f64 v[98:99], v[144:145], -v[164:165]
	v_add_f64 v[100:101], v[50:51], v[24:25]
	v_add_f64 v[104:105], v[148:149], -v[152:153]
	;; [unrolled: 2-line block ×3, first 2 shown]
	v_add_f64 v[114:115], v[162:163], v[86:87]
	v_add_f64 v[118:119], v[142:143], v[82:83]
	v_add_f64 v[120:121], v[46:47], -v[54:55]
	v_add_f64 v[122:123], v[106:107], -v[74:75]
	v_add_f64 v[126:127], v[80:81], v[20:21]
	v_add_f64 v[128:129], v[26:27], -v[28:29]
	v_add_f64 v[124:125], v[30:31], v[32:33]
	v_add_f64 v[192:193], v[146:147], -v[166:167]
	v_add_f64 v[170:171], v[164:165], -v[144:145]
	;; [unrolled: 1-line block ×7, first 2 shown]
	v_add_f64 v[65:66], v[172:173], v[38:39]
	v_add_f64 v[228:229], v[0:1], v[36:37]
	v_add_f64 v[224:225], v[76:77], -v[22:23]
	v_add_f64 v[230:231], v[72:73], -v[134:135]
	v_add_f64 v[232:233], v[42:43], v[106:107]
	v_fma_f64 v[69:70], v[69:70], -0.5, v[4:5]
	v_fma_f64 v[4:5], v[78:79], -0.5, v[4:5]
	v_add_f64 v[236:237], v[92:93], v[142:143]
	v_fma_f64 v[78:79], v[84:85], -0.5, v[6:7]
	v_add_f64 v[84:85], v[166:167], -v[146:147]
	v_fma_f64 v[112:113], v[112:113], -0.5, v[90:91]
	v_add_f64 v[238:239], v[36:37], -v[50:51]
	;; [unrolled: 2-line block ×3, first 2 shown]
	v_add_f64 v[226:227], v[12:13], -v[16:17]
	v_fma_f64 v[6:7], v[88:89], -0.5, v[6:7]
	v_add_f64 v[88:89], v[156:157], -v[150:151]
	v_add_f64 v[234:235], v[44:45], -v[56:57]
	v_fma_f64 v[63:64], v[63:64], -0.5, v[172:173]
	v_add_f64 v[172:173], v[2:3], -v[24:25]
	v_fma_f64 v[100:101], v[100:101], -0.5, v[0:1]
	v_fma_f64 v[67:68], v[67:68], -0.5, v[42:43]
	;; [unrolled: 1-line block ×3, first 2 shown]
	v_add_f64 v[102:103], v[90:91], v[162:163]
	v_fma_f64 v[90:91], v[114:115], -0.5, v[90:91]
	v_fma_f64 v[114:115], v[116:117], -0.5, v[92:93]
	;; [unrolled: 1-line block ×3, first 2 shown]
	v_add_f64 v[116:117], v[40:41], v[80:81]
	v_add_f64 v[118:119], v[22:23], -v[76:77]
	v_fma_f64 v[42:43], v[96:97], -0.5, v[42:43]
	v_fma_f64 v[124:125], v[124:125], -0.5, v[40:41]
	;; [unrolled: 1-line block ×3, first 2 shown]
	v_add_f64 v[126:127], v[16:17], -v[12:13]
	v_add_f64 v[96:97], v[48:49], -v[58:59]
	v_add_f64 v[98:99], v[98:99], v[104:105]
	v_add_f64 v[104:105], v[10:11], -v[34:35]
	v_add_f64 v[108:109], v[108:109], v[120:121]
	;; [unrolled: 2-line block ×4, first 2 shown]
	v_add_f64 v[194:195], v[168:169], v[134:135]
	v_add_f64 v[130:131], v[74:75], -v[28:29]
	v_add_f64 v[170:171], v[170:171], v[174:175]
	v_add_f64 v[174:175], v[50:51], -v[36:37]
	;; [unrolled: 2-line block ×4, first 2 shown]
	v_add_f64 v[106:107], v[106:107], -v[26:27]
	v_add_f64 v[65:66], v[65:66], v[132:133]
	v_add_f64 v[196:197], v[196:197], v[222:223]
	v_add_f64 v[222:223], v[34:35], -v[10:11]
	v_add_f64 v[224:225], v[224:225], v[226:227]
	v_add_f64 v[226:227], v[18:19], -v[52:53]
	;; [unrolled: 2-line block ×4, first 2 shown]
	v_add_f64 v[172:173], v[238:239], v[172:173]
	v_add_f64 v[238:239], v[72:73], v[44:45]
	v_add_f64 v[132:133], v[132:133], -v[54:55]
	v_add_f64 v[188:189], v[188:189], v[164:165]
	v_add_f64 v[38:39], v[38:39], -v[46:47]
	v_add_f64 v[164:165], v[164:165], -v[152:153]
	v_add_f64 v[102:103], v[102:103], v[158:159]
	v_add_f64 v[144:145], v[144:145], -v[148:149]
	v_add_f64 v[146:147], v[146:147], -v[150:151]
	s_mov_b32 s0, 0x9b97f4a8
	s_mov_b32 s1, 0x3fe9e377
	v_add_f64 v[118:119], v[118:119], v[126:127]
	v_add_f64 v[126:127], v[86:87], -v[138:139]
	v_add_f64 v[36:37], v[36:37], -v[2:3]
	v_add_f64 v[96:97], v[96:97], v[104:105]
	v_add_f64 v[104:105], v[134:135], v[56:57]
	v_add_f64 v[134:135], v[134:135], -v[56:57]
	v_add_nc_u32_e32 v240, 0x800, v62
	v_add_f64 v[120:121], v[120:121], v[128:129]
	v_add_f64 v[128:129], v[190:191], v[166:167]
	v_add_f64 v[190:191], v[158:159], -v[138:139]
	v_add_f64 v[194:195], v[194:195], v[72:73]
	v_add_f64 v[166:167], v[166:167], -v[156:157]
	v_add_f64 v[71:72], v[72:73], -v[44:45]
	v_add_f64 v[73:74], v[232:233], v[74:75]
	v_add_f64 v[174:175], v[174:175], v[178:179]
	;; [unrolled: 1-line block ×3, first 2 shown]
	v_add_nc_u32_e32 v241, 0xc00, v62
	v_add_nc_u32_e32 v242, 0x1000, v62
	v_add_f64 v[54:55], v[65:66], v[54:55]
	v_add_f64 v[65:66], v[76:77], v[12:13]
	;; [unrolled: 1-line block ×3, first 2 shown]
	v_fma_f64 v[186:187], v[130:131], s[16:17], v[60:61]
	v_fma_f64 v[60:61], v[130:131], s[14:15], v[60:61]
	;; [unrolled: 1-line block ×3, first 2 shown]
	v_add_f64 v[88:89], v[226:227], v[88:89]
	v_fma_f64 v[63:64], v[106:107], s[16:17], v[63:64]
	v_add_f64 v[226:227], v[162:163], -v[86:87]
	v_add_f64 v[162:163], v[158:159], -v[162:163]
	v_fma_f64 v[158:159], v[238:239], -0.5, v[168:169]
	v_add_f64 v[238:239], v[22:23], v[16:17]
	v_add_f64 v[152:153], v[188:189], v[152:153]
	v_fma_f64 v[188:189], v[38:39], s[16:17], v[67:68]
	v_fma_f64 v[67:68], v[38:39], s[14:15], v[67:68]
	v_add_f64 v[102:103], v[102:103], v[138:139]
	buffer_gl0_inv
	v_add_f64 v[126:127], v[234:235], v[126:127]
	v_add_f64 v[234:235], v[140:141], -v[136:137]
	v_fma_f64 v[104:105], v[104:105], -0.5, v[168:169]
	v_fma_f64 v[168:169], v[132:133], s[14:15], v[42:43]
	v_fma_f64 v[42:43], v[132:133], s[16:17], v[42:43]
	v_add_f64 v[128:129], v[128:129], v[156:157]
	v_add_f64 v[156:157], v[22:23], -v[16:17]
	v_add_f64 v[44:45], v[194:195], v[44:45]
	v_fma_f64 v[194:195], v[190:191], s[16:17], v[69:70]
	v_fma_f64 v[69:70], v[190:191], s[14:15], v[69:70]
	v_add_f64 v[28:29], v[73:74], v[28:29]
	v_add_f64 v[73:74], v[32:33], -v[20:21]
	v_fma_f64 v[232:233], v[232:233], -0.5, v[110:111]
	v_add_f64 v[46:47], v[54:55], v[46:47]
	v_fma_f64 v[65:66], v[65:66], -0.5, v[154:155]
	v_add_f64 v[54:55], v[18:19], v[14:15]
	v_fma_f64 v[186:187], v[106:107], s[10:11], v[186:187]
	v_fma_f64 v[60:61], v[106:107], s[12:13], v[60:61]
	v_add_f64 v[106:107], v[48:49], v[10:11]
	v_fma_f64 v[222:223], v[130:131], s[10:11], v[222:223]
	v_fma_f64 v[63:64], v[130:131], s[12:13], v[63:64]
	;; [unrolled: 1-line block ×4, first 2 shown]
	v_fma_f64 v[238:239], v[238:239], -0.5, v[154:155]
	v_add_f64 v[154:155], v[154:155], v[76:77]
	v_fma_f64 v[188:189], v[132:133], s[12:13], v[188:189]
	v_fma_f64 v[67:68], v[132:133], s[10:11], v[67:68]
	v_add_f64 v[75:76], v[76:77], -v[12:13]
	v_add_f64 v[148:149], v[152:153], v[148:149]
	v_fma_f64 v[132:133], v[234:235], s[16:17], v[6:7]
	v_fma_f64 v[6:7], v[234:235], s[14:15], v[6:7]
	;; [unrolled: 1-line block ×4, first 2 shown]
	v_add_f64 v[42:43], v[142:143], -v[82:83]
	v_add_f64 v[128:129], v[128:129], v[150:151]
	v_add_f64 v[44:45], v[44:45], v[56:57]
	v_fma_f64 v[194:195], v[226:227], s[10:11], v[194:195]
	v_fma_f64 v[69:70], v[226:227], s[12:13], v[69:70]
	;; [unrolled: 1-line block ×4, first 2 shown]
	v_add_f64 v[26:27], v[28:29], v[26:27]
	v_fma_f64 v[56:57], v[71:72], s[14:15], v[65:66]
	v_fma_f64 v[65:66], v[71:72], s[16:17], v[65:66]
	v_fma_f64 v[54:55], v[54:55], -0.5, v[94:95]
	v_fma_f64 v[60:61], v[176:177], s[4:5], v[60:61]
	v_fma_f64 v[106:107], v[106:107], -0.5, v[110:111]
	v_add_f64 v[110:111], v[110:111], v[48:49]
	v_add_f64 v[48:49], v[48:49], -v[10:11]
	v_fma_f64 v[130:131], v[190:191], s[10:11], v[130:131]
	v_fma_f64 v[4:5], v[190:191], s[12:13], v[4:5]
	v_add_f64 v[190:191], v[52:53], v[8:9]
	v_fma_f64 v[150:151], v[134:135], s[16:17], v[238:239]
	v_fma_f64 v[238:239], v[134:135], s[14:15], v[238:239]
	;; [unrolled: 1-line block ×7, first 2 shown]
	v_add_f64 v[22:23], v[154:155], v[22:23]
	v_add_f64 v[154:155], v[82:83], -v[136:137]
	v_fma_f64 v[168:169], v[184:185], s[4:5], v[168:169]
	v_fma_f64 v[38:39], v[184:185], s[4:5], v[38:39]
	;; [unrolled: 1-line block ×10, first 2 shown]
	v_add_f64 v[104:105], v[18:19], -v[14:15]
	v_and_b32_e32 v79, 0xffff, v219
	v_fma_f64 v[194:195], v[170:171], s[4:5], v[194:195]
	v_fma_f64 v[69:70], v[170:171], s[4:5], v[69:70]
	;; [unrolled: 1-line block ×4, first 2 shown]
	v_mul_u32_u24_e32 v79, 0x1770, v79
	v_mul_f64 v[221:222], v[60:61], s[4:5]
	v_add_f64 v[110:111], v[110:111], v[58:59]
	v_add_f64 v[58:59], v[58:59], -v[34:35]
	s_delay_alu instid0(VALU_DEP_4)
	v_add3_u32 v182, 0, v79, v182
	v_mul_u32_u24_e32 v79, 0x1770, v198
	v_fma_f64 v[190:191], v[190:191], -0.5, v[94:95]
	v_add_f64 v[94:95], v[94:95], v[52:53]
	v_add_f64 v[52:53], v[52:53], -v[8:9]
	v_fma_f64 v[150:151], v[71:72], s[12:13], v[150:151]
	v_fma_f64 v[71:72], v[71:72], s[10:11], v[238:239]
	v_fma_f64 v[238:239], v[48:49], s[16:17], v[54:55]
	v_fma_f64 v[54:55], v[48:49], s[14:15], v[54:55]
	v_lshlrev_b32_e32 v198, 3, v220
	v_mul_f64 v[184:185], v[188:189], s[10:11]
	v_mul_f64 v[122:123], v[63:64], s[0:1]
	v_fma_f64 v[130:131], v[98:99], s[4:5], v[130:131]
	v_fma_f64 v[4:5], v[98:99], s[4:5], v[4:5]
	v_add3_u32 v198, 0, v79, v198
	v_add_f64 v[16:17], v[22:23], v[16:17]
	v_mul_f64 v[186:187], v[168:169], s[14:15]
	v_fma_f64 v[152:153], v[234:235], s[10:11], v[152:153]
	v_fma_f64 v[77:78], v[234:235], s[12:13], v[77:78]
	;; [unrolled: 1-line block ×10, first 2 shown]
	v_add_f64 v[84:85], v[142:143], -v[140:141]
	v_add_f64 v[142:143], v[140:141], -v[142:143]
	v_fma_f64 v[56:57], v[118:119], s[4:5], v[56:57]
	v_fma_f64 v[65:66], v[118:119], s[4:5], v[65:66]
	v_add_f64 v[140:141], v[236:237], v[140:141]
	v_fma_f64 v[221:222], v[38:39], s[14:15], -v[221:222]
	v_mul_f64 v[38:39], v[38:39], s[4:5]
	v_add_f64 v[34:35], v[110:111], v[34:35]
	v_fma_f64 v[158:159], v[58:59], s[14:15], v[190:191]
	v_fma_f64 v[190:191], v[58:59], s[16:17], v[190:191]
	;; [unrolled: 1-line block ×7, first 2 shown]
	v_add_f64 v[58:59], v[228:229], v[50:51]
	v_fma_f64 v[71:72], v[224:225], s[4:5], v[71:72]
	v_fma_f64 v[184:185], v[108:109], s[0:1], v[184:185]
	v_fma_f64 v[122:123], v[67:68], s[10:11], -v[122:123]
	v_add_f64 v[50:51], v[50:51], -v[24:25]
	v_add_f64 v[18:19], v[94:95], v[18:19]
	v_fma_f64 v[94:95], v[164:165], s[14:15], v[90:91]
	v_fma_f64 v[90:91], v[164:165], s[16:17], v[90:91]
	v_fma_f64 v[186:187], v[176:177], s[4:5], v[186:187]
	v_mul_f64 v[108:109], v[108:109], s[12:13]
	v_fma_f64 v[152:153], v[192:193], s[4:5], v[152:153]
	v_fma_f64 v[77:78], v[192:193], s[4:5], v[77:78]
	v_add_f64 v[192:193], v[80:81], -v[30:31]
	v_add_nc_u32_e32 v225, 0x800, v182
	v_fma_f64 v[42:43], v[196:197], s[4:5], v[42:43]
	v_fma_f64 v[118:119], v[196:197], s[4:5], v[156:157]
	v_add_nc_u32_e32 v238, 0xc00, v182
	v_mul_f64 v[230:231], v[75:76], s[4:5]
	v_fma_f64 v[134:135], v[52:53], s[10:11], v[134:135]
	v_fma_f64 v[52:53], v[52:53], s[12:13], v[106:107]
	v_add_f64 v[106:107], v[30:31], -v[32:33]
	v_mul_f64 v[67:68], v[67:68], s[0:1]
	v_mul_f64 v[196:197], v[56:57], s[14:15]
	v_add_f64 v[84:85], v[84:85], v[154:155]
	v_add_f64 v[12:13], v[16:17], v[12:13]
	v_fma_f64 v[38:39], v[60:61], s[16:17], -v[38:39]
	v_add_f64 v[10:11], v[34:35], v[10:11]
	v_fma_f64 v[34:35], v[36:37], s[16:17], v[124:125]
	v_fma_f64 v[124:125], v[36:37], s[14:15], v[124:125]
	;; [unrolled: 1-line block ×4, first 2 shown]
	v_add_f64 v[190:191], v[80:81], -v[20:21]
	v_fma_f64 v[234:235], v[104:105], s[10:11], v[234:235]
	v_fma_f64 v[104:105], v[104:105], s[12:13], v[232:233]
	v_mul_f64 v[156:157], v[150:151], s[10:11]
	v_fma_f64 v[219:220], v[120:121], s[4:5], v[219:220]
	v_add_f64 v[24:25], v[58:59], v[24:25]
	v_fma_f64 v[58:59], v[144:145], s[16:17], v[112:113]
	v_fma_f64 v[54:55], v[120:121], s[4:5], v[54:55]
	v_add_f64 v[232:233], v[69:70], v[221:222]
	v_fma_f64 v[112:113], v[144:145], s[14:15], v[112:113]
	v_add_f64 v[79:80], v[30:31], -v[80:81]
	v_add_f64 v[30:31], v[116:117], v[30:31]
	v_add_f64 v[116:117], v[136:137], -v[82:83]
	v_add_f64 v[69:70], v[69:70], -v[221:222]
	v_add_f64 v[14:15], v[18:19], v[14:15]
	v_fma_f64 v[28:29], v[188:189], s[0:1], v[108:109]
	v_mul_f64 v[223:224], v[42:43], s[0:1]
	v_mul_f64 v[22:23], v[118:119], s[12:13]
	v_fma_f64 v[228:229], v[65:66], s[14:15], -v[230:231]
	v_add_f64 v[230:231], v[138:139], -v[86:87]
	v_fma_f64 v[52:53], v[178:179], s[4:5], v[52:53]
	v_fma_f64 v[170:171], v[106:107], s[16:17], v[0:1]
	;; [unrolled: 1-line block ×6, first 2 shown]
	v_mul_f64 v[65:66], v[65:66], s[4:5]
	v_add_f64 v[86:87], v[102:103], v[86:87]
	v_fma_f64 v[63:64], v[63:64], s[12:13], -v[67:68]
	v_fma_f64 v[34:35], v[50:51], s[12:13], v[34:35]
	v_fma_f64 v[158:159], v[88:89], s[4:5], v[158:159]
	;; [unrolled: 1-line block ×8, first 2 shown]
	v_mul_f64 v[88:89], v[219:220], s[10:11]
	v_add_f64 v[2:3], v[24:25], v[2:3]
	v_fma_f64 v[24:25], v[166:167], s[14:15], v[92:93]
	v_fma_f64 v[92:93], v[166:167], s[16:17], v[92:93]
	;; [unrolled: 1-line block ×3, first 2 shown]
	v_add_f64 v[30:31], v[30:31], v[32:33]
	v_add_f64 v[8:9], v[14:15], v[8:9]
	v_fma_f64 v[223:224], v[71:72], s[10:11], -v[223:224]
	v_mul_f64 v[71:72], v[71:72], s[0:1]
	v_fma_f64 v[16:17], v[150:151], s[0:1], v[22:23]
	v_add_f64 v[221:222], v[6:7], v[228:229]
	v_add_f64 v[6:7], v[6:7], -v[228:229]
	v_fma_f64 v[110:111], v[190:191], s[10:11], v[170:171]
	v_fma_f64 v[0:1], v[190:191], s[12:13], v[0:1]
	v_add_f64 v[190:191], v[194:195], v[186:187]
	v_add_f64 v[186:187], v[194:195], -v[186:187]
	v_add_f64 v[194:195], v[132:133], v[196:197]
	v_add_f64 v[132:133], v[132:133], -v[196:197]
	v_add_f64 v[196:197], v[20:21], -v[32:33]
	v_add_f64 v[32:33], v[79:80], v[73:74]
	v_fma_f64 v[65:66], v[75:76], s[16:17], -v[65:66]
	v_mul_f64 v[120:121], v[158:159], s[14:15]
	v_fma_f64 v[98:99], v[106:107], s[10:11], v[98:99]
	v_fma_f64 v[100:101], v[106:107], s[12:13], v[100:101]
	v_add_f64 v[106:107], v[148:149], v[46:47]
	v_add_f64 v[46:47], v[148:149], -v[46:47]
	v_add_f64 v[148:149], v[128:129], v[44:45]
	v_add_f64 v[44:45], v[128:129], -v[44:45]
	v_fma_f64 v[128:129], v[178:179], s[4:5], v[134:135]
	v_add_f64 v[178:179], v[130:131], v[184:185]
	v_mul_f64 v[134:135], v[52:53], s[4:5]
	v_mul_f64 v[170:171], v[104:105], s[0:1]
	v_add_f64 v[130:131], v[130:131], -v[184:185]
	v_add_f64 v[184:185], v[4:5], v[122:123]
	v_add_f64 v[4:5], v[4:5], -v[122:123]
	v_add_f64 v[122:123], v[152:153], v[156:157]
	v_add_f64 v[152:153], v[152:153], -v[156:157]
	v_fma_f64 v[88:89], v[96:97], s[0:1], v[88:89]
	v_fma_f64 v[24:25], v[146:147], s[12:13], v[24:25]
	;; [unrolled: 1-line block ×3, first 2 shown]
	v_mul_f64 v[18:19], v[96:97], s[12:13]
	v_add_f64 v[156:157], v[77:78], v[223:224]
	ds_store_2addr_b64 v62, v[106:107], v[178:179] offset1:75
	ds_store_2addr_b64 v62, v[190:191], v[232:233] offset0:150 offset1:225
	ds_store_2addr_b64 v240, v[184:185], v[46:47] offset0:44 offset1:119
	;; [unrolled: 1-line block ×4, first 2 shown]
	ds_store_2addr_b64 v182, v[148:149], v[122:123] offset1:75
	ds_store_2addr_b64 v182, v[194:195], v[221:222] offset0:150 offset1:225
	ds_store_2addr_b64 v225, v[156:157], v[44:45] offset0:44 offset1:119
	;; [unrolled: 1-line block ×3, first 2 shown]
	v_fma_f64 v[110:111], v[174:175], s[4:5], v[110:111]
	v_fma_f64 v[0:1], v[174:175], s[4:5], v[0:1]
	;; [unrolled: 1-line block ×5, first 2 shown]
	v_add_f64 v[4:5], v[162:163], v[230:231]
	v_fma_f64 v[44:45], v[144:145], s[12:13], v[94:95]
	v_fma_f64 v[46:47], v[144:145], s[10:11], v[90:91]
	v_mul_f64 v[69:70], v[176:177], s[16:17]
	v_fma_f64 v[120:121], v[128:129], s[4:5], v[120:121]
	v_fma_f64 v[134:135], v[48:49], s[14:15], -v[134:135]
	v_fma_f64 v[90:91], v[164:165], s[10:11], v[112:113]
	v_fma_f64 v[100:101], v[172:173], s[4:5], v[100:101]
	v_fma_f64 v[170:171], v[54:55], s[10:11], -v[170:171]
	v_fma_f64 v[94:95], v[166:167], s[12:13], v[138:139]
	v_fma_f64 v[106:107], v[166:167], s[10:11], v[114:115]
	v_add_f64 v[112:113], v[140:141], v[136:137]
	v_add_f64 v[114:115], v[142:143], v[116:117]
	v_mul_f64 v[116:117], v[226:227], s[16:17]
	v_add_f64 v[118:119], v[192:193], v[196:197]
	v_mul_f64 v[79:80], v[128:129], s[16:17]
	v_add_f64 v[77:78], v[77:78], -v[223:224]
	v_fma_f64 v[58:59], v[126:127], s[4:5], v[58:59]
	v_fma_f64 v[42:43], v[42:43], s[12:13], -v[71:72]
	v_add_f64 v[20:21], v[30:31], v[20:21]
	v_fma_f64 v[14:15], v[219:220], s[0:1], v[18:19]
	v_fma_f64 v[73:74], v[36:37], s[12:13], v[174:175]
	v_fma_f64 v[36:37], v[36:37], s[10:11], v[40:41]
	v_mul_f64 v[40:41], v[48:49], s[4:5]
	v_fma_f64 v[48:49], v[50:51], s[10:11], v[124:125]
	v_mul_f64 v[50:51], v[54:55], s[0:1]
	v_add_f64 v[54:55], v[2:3], v[10:11]
	v_add_f64 v[96:97], v[98:99], v[88:89]
	v_fma_f64 v[44:45], v[4:5], s[4:5], v[44:45]
	v_fma_f64 v[4:5], v[4:5], s[4:5], v[46:47]
	;; [unrolled: 1-line block ×3, first 2 shown]
	v_add_f64 v[122:123], v[110:111], v[120:121]
	v_add_f64 v[124:125], v[0:1], v[134:135]
	v_fma_f64 v[60:61], v[126:127], s[4:5], v[90:91]
	v_add_f64 v[2:3], v[2:3], -v[10:11]
	v_add_f64 v[10:11], v[100:101], v[170:171]
	v_add_f64 v[67:68], v[112:113], v[82:83]
	v_fma_f64 v[69:70], v[84:85], s[4:5], v[94:95]
	v_fma_f64 v[22:23], v[114:115], s[4:5], v[24:25]
	v_fma_f64 v[24:25], v[56:57], s[4:5], v[116:117]
	v_fma_f64 v[56:57], v[114:115], s[4:5], v[92:93]
	v_fma_f64 v[75:76], v[84:85], s[4:5], v[106:107]
	v_fma_f64 v[30:31], v[118:119], s[4:5], v[34:35]
	v_fma_f64 v[34:35], v[158:159], s[4:5], v[79:80]
	v_add_f64 v[0:1], v[0:1], -v[134:135]
	v_add_f64 v[71:72], v[100:101], -v[170:171]
	v_add_nc_u32_e32 v126, 0x1000, v182
	v_add_nc_u32_e32 v127, 0x800, v198
	ds_store_2addr_b64 v126, v[6:7], v[77:78] offset0:88 offset1:163
	ds_store_2addr_b64 v198, v[54:55], v[96:97] offset1:75
	ds_store_2addr_b64 v198, v[122:123], v[124:125] offset0:150 offset1:225
	ds_store_2addr_b64 v127, v[10:11], v[2:3] offset0:44 offset1:119
	v_fma_f64 v[18:19], v[32:33], s[4:5], v[73:74]
	v_fma_f64 v[32:33], v[32:33], s[4:5], v[36:37]
	v_fma_f64 v[36:37], v[52:53], s[16:17], -v[40:41]
	v_fma_f64 v[40:41], v[118:119], s[4:5], v[48:49]
	v_fma_f64 v[48:49], v[104:105], s[12:13], -v[50:51]
	v_add_f64 v[50:51], v[98:99], -v[88:89]
	v_add_f64 v[52:53], v[110:111], -v[120:121]
	v_add_nc_u32_e32 v123, 0xc00, v198
	v_add_f64 v[73:74], v[86:87], v[26:27]
	v_add_f64 v[77:78], v[58:59], v[28:29]
	v_add_nc_u32_e32 v124, 0x1000, v198
	v_add_f64 v[79:80], v[44:45], v[46:47]
	v_add_f64 v[81:82], v[4:5], v[38:39]
	v_add_f64 v[83:84], v[86:87], -v[26:27]
	v_add_f64 v[85:86], v[60:61], v[63:64]
	v_add_f64 v[87:88], v[58:59], -v[28:29]
	v_add_f64 v[89:90], v[44:45], -v[46:47]
	;; [unrolled: 1-line block ×4, first 2 shown]
	v_add_f64 v[63:64], v[67:68], v[12:13]
	v_add_f64 v[93:94], v[69:70], v[16:17]
	v_add_f64 v[67:68], v[67:68], -v[12:13]
	v_add_f64 v[95:96], v[22:23], v[24:25]
	v_add_f64 v[69:70], v[69:70], -v[16:17]
	;; [unrolled: 2-line block ×4, first 2 shown]
	v_add_f64 v[75:76], v[75:76], -v[42:43]
	v_add_f64 v[103:104], v[20:21], v[8:9]
	v_add_f64 v[105:106], v[30:31], v[14:15]
	v_add_f64 v[107:108], v[20:21], -v[8:9]
	v_add_f64 v[111:112], v[30:31], -v[14:15]
	ds_store_2addr_b64 v123, v[50:51], v[52:53] offset0:66 offset1:141
	ds_store_2addr_b64 v124, v[0:1], v[71:72] offset0:88 offset1:163
	v_add_f64 v[109:110], v[18:19], v[34:35]
	v_add_f64 v[113:114], v[32:33], v[36:37]
	v_add_f64 v[115:116], v[18:19], -v[34:35]
	v_add_f64 v[117:118], v[40:41], v[48:49]
	v_add_f64 v[119:120], v[32:33], -v[36:37]
	v_add_f64 v[121:122], v[40:41], -v[48:49]
	s_waitcnt lgkmcnt(0)
	s_barrier
	buffer_gl0_inv
	ds_load_2addr_b64 v[0:3], v199 offset1:125
	ds_load_2addr_b64 v[20:23], v202 offset0:110 offset1:235
	ds_load_2addr_b64 v[12:15], v203 offset0:92 offset1:217
	;; [unrolled: 1-line block ×14, first 2 shown]
	s_waitcnt lgkmcnt(0)
	s_barrier
	buffer_gl0_inv
	ds_store_2addr_b64 v62, v[73:74], v[77:78] offset1:75
	ds_store_2addr_b64 v62, v[79:80], v[81:82] offset0:150 offset1:225
	ds_store_2addr_b64 v240, v[85:86], v[83:84] offset0:44 offset1:119
	ds_store_2addr_b64 v241, v[87:88], v[89:90] offset0:66 offset1:141
	ds_store_2addr_b64 v242, v[91:92], v[60:61] offset0:88 offset1:163
	ds_store_2addr_b64 v182, v[63:64], v[93:94] offset1:75
	ds_store_2addr_b64 v182, v[95:96], v[97:98] offset0:150 offset1:225
	ds_store_2addr_b64 v225, v[101:102], v[67:68] offset0:44 offset1:119
	ds_store_2addr_b64 v238, v[69:70], v[99:100] offset0:66 offset1:141
	ds_store_2addr_b64 v126, v[65:66], v[75:76] offset0:88 offset1:163
	;; [unrolled: 5-line block ×3, first 2 shown]
	s_waitcnt lgkmcnt(0)
	s_barrier
	buffer_gl0_inv
	s_and_saveexec_b32 s0, vcc_lo
	s_cbranch_execz .LBB0_15
; %bb.14:
	v_add_nc_u32_e32 v198, 0x7d, v255
	v_lshlrev_b32_e32 v182, 2, v218
	v_lshlrev_b64 v[227:228], 4, v[180:181]
	v_mul_lo_u32 v184, s2, v161
	v_mad_u64_u32 v[225:226], null, s2, v160, 0
	v_mul_hi_u32 v197, 0x57619f1, v198
	v_dual_mov_b32 v230, v183 :: v_dual_add_nc_u32 v221, 0xfa, v255
	s_delay_alu instid0(VALU_DEP_1) | instskip(NEXT) | instid1(VALU_DEP_3)
	v_mul_hi_u32 v180, 0x57619f1, v221
	v_lshrrev_b32_e32 v181, 4, v197
	v_mov_b32_e32 v197, v183
	v_lshlrev_b64 v[60:61], 4, v[182:183]
	v_lshlrev_b32_e32 v182, 2, v217
	s_delay_alu instid0(VALU_DEP_2) | instskip(NEXT) | instid1(VALU_DEP_3)
	v_add_co_u32 v62, vcc_lo, s8, v60
	v_add_co_ci_u32_e32 v63, vcc_lo, s9, v61, vcc_lo
	s_delay_alu instid0(VALU_DEP_3) | instskip(NEXT) | instid1(VALU_DEP_3)
	v_lshlrev_b64 v[60:61], 4, v[182:183]
	v_add_co_u32 v68, vcc_lo, 0x2eb0, v62
	s_delay_alu instid0(VALU_DEP_3)
	v_add_co_ci_u32_e32 v69, vcc_lo, 0, v63, vcc_lo
	v_add_co_u32 v62, vcc_lo, 0x2000, v62
	v_add_co_ci_u32_e32 v63, vcc_lo, 0, v63, vcc_lo
	v_add_co_u32 v72, vcc_lo, s8, v60
	v_lshlrev_b32_e32 v182, 2, v216
	v_add_co_ci_u32_e32 v73, vcc_lo, s9, v61, vcc_lo
	s_delay_alu instid0(VALU_DEP_3) | instskip(NEXT) | instid1(VALU_DEP_3)
	v_add_co_u32 v70, vcc_lo, 0x2000, v72
	v_lshlrev_b64 v[92:93], 4, v[182:183]
	s_delay_alu instid0(VALU_DEP_3)
	v_add_co_ci_u32_e32 v71, vcc_lo, 0, v73, vcc_lo
	v_add_co_u32 v72, vcc_lo, 0x2eb0, v72
	s_clause 0x1
	global_load_b128 v[64:67], v[62:63], off offset:3760
	global_load_b128 v[60:63], v[68:69], off offset:48
	v_add_co_ci_u32_e32 v73, vcc_lo, 0, v73, vcc_lo
	v_add_co_u32 v94, vcc_lo, s8, v92
	v_lshlrev_b32_e32 v182, 2, v215
	v_add_co_ci_u32_e32 v95, vcc_lo, s9, v93, vcc_lo
	s_delay_alu instid0(VALU_DEP_3) | instskip(NEXT) | instid1(VALU_DEP_3)
	v_add_co_u32 v100, vcc_lo, 0x2eb0, v94
	v_lshlrev_b64 v[92:93], 4, v[182:183]
	s_clause 0x5
	global_load_b128 v[76:79], v[68:69], off offset:32
	global_load_b128 v[80:83], v[68:69], off offset:16
	;; [unrolled: 1-line block ×6, first 2 shown]
	v_add_co_ci_u32_e32 v101, vcc_lo, 0, v95, vcc_lo
	v_add_co_u32 v94, vcc_lo, 0x2000, v94
	v_add_co_ci_u32_e32 v95, vcc_lo, 0, v95, vcc_lo
	v_add_co_u32 v104, vcc_lo, s8, v92
	v_lshlrev_b32_e32 v182, 2, v214
	v_add_co_ci_u32_e32 v105, vcc_lo, s9, v93, vcc_lo
	s_delay_alu instid0(VALU_DEP_3) | instskip(NEXT) | instid1(VALU_DEP_3)
	v_add_co_u32 v102, vcc_lo, 0x2000, v104
	v_lshlrev_b64 v[124:125], 4, v[182:183]
	s_delay_alu instid0(VALU_DEP_3) | instskip(SKIP_2) | instid1(VALU_DEP_4)
	v_add_co_ci_u32_e32 v103, vcc_lo, 0, v105, vcc_lo
	v_add_co_u32 v116, vcc_lo, 0x2eb0, v104
	v_add_co_ci_u32_e32 v117, vcc_lo, 0, v105, vcc_lo
	v_add_co_u32 v128, vcc_lo, s8, v124
	v_lshlrev_b32_e32 v182, 2, v255
	v_add_co_ci_u32_e32 v129, vcc_lo, s9, v125, vcc_lo
	s_delay_alu instid0(VALU_DEP_3) | instskip(NEXT) | instid1(VALU_DEP_3)
	v_add_co_u32 v124, vcc_lo, 0x2eb0, v128
	v_lshlrev_b64 v[126:127], 4, v[182:183]
	s_delay_alu instid0(VALU_DEP_3) | instskip(SKIP_2) | instid1(VALU_DEP_4)
	v_add_co_ci_u32_e32 v125, vcc_lo, 0, v129, vcc_lo
	v_add_co_u32 v136, vcc_lo, 0x2000, v128
	v_add_co_ci_u32_e32 v137, vcc_lo, 0, v129, vcc_lo
	v_add_co_u32 v126, vcc_lo, s8, v126
	v_add_co_ci_u32_e32 v127, vcc_lo, s9, v127, vcc_lo
	s_clause 0xb
	global_load_b128 v[92:95], v[94:95], off offset:3760
	global_load_b128 v[96:99], v[100:101], off offset:48
	;; [unrolled: 1-line block ×12, first 2 shown]
	v_add_co_u32 v124, vcc_lo, 0x2000, v126
	v_add_co_ci_u32_e32 v125, vcc_lo, 0, v127, vcc_lo
	v_add_co_u32 v126, vcc_lo, 0x2eb0, v126
	v_add_co_ci_u32_e32 v127, vcc_lo, 0, v127, vcc_lo
	s_clause 0x3
	global_load_b128 v[144:147], v[124:125], off offset:3760
	global_load_b128 v[148:151], v[126:127], off offset:48
	;; [unrolled: 1-line block ×4, first 2 shown]
	v_mul_lo_u32 v182, s3, v160
	ds_load_2addr_b64 v[172:175], v212 offset0:98 offset1:223
	ds_load_2addr_b64 v[164:167], v210 offset0:80 offset1:205
	;; [unrolled: 1-line block ×12, first 2 shown]
	v_mul_hi_u32 v204, 0x57619f1, v255
	ds_load_2addr_b64 v[217:220], v200 offset0:74 offset1:199
	ds_load_2addr_b64 v[200:203], v201 offset0:56 offset1:181
	ds_load_2addr_b64 v[221:224], v199 offset1:125
	v_add3_u32 v226, v226, v184, v182
	v_mul_u32_u24_e32 v182, 0x2ee, v181
	v_lshrrev_b32_e32 v184, 4, v180
	v_lshrrev_b32_e32 v204, 4, v204
	s_delay_alu instid0(VALU_DEP_4) | instskip(NEXT) | instid1(VALU_DEP_4)
	v_lshlrev_b64 v[225:226], 4, v[225:226]
	v_sub_nc_u32_e32 v180, v198, v182
	s_delay_alu instid0(VALU_DEP_3) | instskip(NEXT) | instid1(VALU_DEP_2)
	v_mul_u32_u24_e32 v199, 0x2ee, v204
	v_mad_u32_u24 v182, 0xea6, v181, v180
	s_delay_alu instid0(VALU_DEP_4) | instskip(SKIP_2) | instid1(VALU_DEP_4)
	v_add_co_u32 v180, vcc_lo, s6, v225
	v_mov_b32_e32 v204, v183
	v_add_co_ci_u32_e32 v181, vcc_lo, s7, v226, vcc_lo
	v_add_nc_u32_e32 v229, 0x2ee, v182
	v_lshlrev_b64 v[237:238], 4, v[182:183]
	v_sub_nc_u32_e32 v198, v255, v199
	s_delay_alu instid0(VALU_DEP_1)
	v_lshlrev_b32_e32 v198, 4, v198
	s_waitcnt vmcnt(23) lgkmcnt(14)
	v_mul_f64 v[231:232], v[64:65], v[174:175]
	s_waitcnt vmcnt(22) lgkmcnt(11)
	v_mul_f64 v[225:226], v[60:61], v[170:171]
	v_mul_f64 v[235:236], v[62:63], v[170:171]
	v_add_co_u32 v170, vcc_lo, v180, v227
	v_add_co_ci_u32_e32 v171, vcc_lo, v181, v228, vcc_lo
	v_lshlrev_b64 v[227:228], 4, v[229:230]
	v_mul_f64 v[174:175], v[66:67], v[174:175]
	s_waitcnt vmcnt(19)
	v_mul_f64 v[233:234], v[88:89], v[172:173]
	s_waitcnt vmcnt(18)
	v_mul_f64 v[229:230], v[84:85], v[168:169]
	v_mul_f64 v[239:240], v[86:87], v[168:169]
	v_add_co_u32 v168, vcc_lo, v170, v237
	v_add_co_ci_u32_e32 v169, vcc_lo, v171, v238, vcc_lo
	v_mul_f64 v[237:238], v[80:81], v[166:167]
	v_mul_f64 v[241:242], v[82:83], v[166:167]
	v_add_co_u32 v166, vcc_lo, v170, v227
	v_mul_f64 v[172:173], v[90:91], v[172:173]
	v_add_co_ci_u32_e32 v167, vcc_lo, v171, v228, vcc_lo
	v_mul_f64 v[227:228], v[76:77], v[162:163]
	v_mul_f64 v[162:163], v[78:79], v[162:163]
	s_waitcnt vmcnt(16)
	v_mul_f64 v[243:244], v[72:73], v[164:165]
	v_mul_f64 v[164:165], v[74:75], v[164:165]
	;; [unrolled: 1-line block ×4, first 2 shown]
	v_fma_f64 v[66:67], v[58:59], v[66:67], v[231:232]
	v_fma_f64 v[62:63], v[54:55], v[62:63], v[225:226]
	v_fma_f64 v[54:55], v[54:55], v[60:61], -v[235:236]
	v_fma_f64 v[58:59], v[58:59], v[64:65], -v[174:175]
	v_fma_f64 v[90:91], v[56:57], v[90:91], v[233:234]
	v_fma_f64 v[86:87], v[52:53], v[86:87], v[229:230]
	v_fma_f64 v[52:53], v[52:53], v[84:85], -v[239:240]
	s_waitcnt vmcnt(15) lgkmcnt(8)
	v_mul_f64 v[64:65], v[92:93], v[191:192]
	s_waitcnt vmcnt(13) lgkmcnt(7)
	v_mul_f64 v[174:175], v[104:105], v[195:196]
	s_waitcnt vmcnt(12)
	v_mul_f64 v[247:248], v[120:121], v[187:188]
	v_mul_f64 v[187:188], v[122:123], v[187:188]
	;; [unrolled: 1-line block ×3, first 2 shown]
	s_waitcnt vmcnt(11)
	v_mul_f64 v[195:196], v[108:109], v[189:190]
	v_mul_f64 v[189:190], v[110:111], v[189:190]
	s_waitcnt vmcnt(8)
	v_mul_f64 v[225:226], v[116:117], v[185:186]
	v_fma_f64 v[56:57], v[56:57], v[88:89], -v[172:173]
	s_waitcnt lgkmcnt(6)
	v_mul_f64 v[88:89], v[96:97], v[207:208]
	v_mul_f64 v[172:173], v[94:95], v[191:192]
	;; [unrolled: 1-line block ×8, first 2 shown]
	s_waitcnt vmcnt(6) lgkmcnt(4)
	v_mul_f64 v[233:234], v[132:133], v[211:212]
	s_waitcnt vmcnt(5) lgkmcnt(3)
	v_mul_f64 v[84:85], v[136:137], v[215:216]
	s_waitcnt lgkmcnt(2)
	v_mul_f64 v[229:230], v[128:129], v[219:220]
	s_waitcnt vmcnt(4) lgkmcnt(1)
	v_mul_f64 v[235:236], v[140:141], v[202:203]
	v_mul_f64 v[215:216], v[138:139], v[215:216]
	v_fma_f64 v[82:83], v[50:51], v[82:83], v[237:238]
	v_mul_f64 v[202:203], v[142:143], v[202:203]
	v_mul_f64 v[211:212], v[134:135], v[211:212]
	v_fma_f64 v[78:79], v[46:47], v[78:79], v[227:228]
	v_fma_f64 v[76:77], v[46:47], v[76:77], -v[162:163]
	v_mul_f64 v[162:163], v[130:131], v[219:220]
	s_waitcnt vmcnt(3)
	v_mul_f64 v[219:220], v[144:145], v[213:214]
	s_waitcnt vmcnt(2)
	;; [unrolled: 2-line block ×4, first 2 shown]
	v_mul_f64 v[239:240], v[152:153], v[217:218]
	v_fma_f64 v[80:81], v[50:51], v[80:81], -v[241:242]
	v_mul_f64 v[213:214], v[146:147], v[213:214]
	v_mul_f64 v[199:200], v[150:151], v[200:201]
	;; [unrolled: 1-line block ×4, first 2 shown]
	v_fma_f64 v[74:75], v[48:49], v[74:75], v[243:244]
	v_fma_f64 v[48:49], v[48:49], v[72:73], -v[164:165]
	v_fma_f64 v[70:71], v[44:45], v[70:71], v[245:246]
	v_fma_f64 v[44:45], v[44:45], v[68:69], -v[160:161]
	v_fma_f64 v[68:69], v[30:31], v[122:123], v[247:248]
	v_fma_f64 v[64:65], v[38:39], v[94:95], v[64:65]
	;; [unrolled: 1-line block ×3, first 2 shown]
	v_fma_f64 v[30:31], v[30:31], v[120:121], -v[187:188]
	v_fma_f64 v[34:35], v[34:35], v[104:105], -v[60:61]
	v_fma_f64 v[60:61], v[28:29], v[118:119], v[225:226]
	v_fma_f64 v[88:89], v[42:43], v[98:99], v[88:89]
	v_fma_f64 v[38:39], v[38:39], v[92:93], -v[172:173]
	v_fma_f64 v[42:43], v[42:43], v[96:97], -v[191:192]
	v_fma_f64 v[92:93], v[36:37], v[110:111], v[195:196]
	v_fma_f64 v[96:97], v[40:41], v[114:115], v[207:208]
	v_fma_f64 v[36:37], v[36:37], v[108:109], -v[189:190]
	v_fma_f64 v[94:95], v[32:33], v[102:103], v[231:232]
	v_fma_f64 v[40:41], v[40:41], v[112:113], -v[205:206]
	v_fma_f64 v[28:29], v[28:29], v[116:117], -v[185:186]
	;; [unrolled: 1-line block ×3, first 2 shown]
	v_fma_f64 v[98:99], v[14:15], v[134:135], v[233:234]
	v_fma_f64 v[84:85], v[22:23], v[138:139], v[84:85]
	;; [unrolled: 1-line block ×4, first 2 shown]
	v_fma_f64 v[22:23], v[22:23], v[136:137], -v[215:216]
	v_fma_f64 v[26:27], v[26:27], v[140:141], -v[202:203]
	;; [unrolled: 1-line block ×3, first 2 shown]
	v_add_f64 v[112:113], v[82:83], -v[66:67]
	v_fma_f64 v[18:19], v[18:19], v[128:129], -v[162:163]
	v_fma_f64 v[106:107], v[20:21], v[146:147], v[219:220]
	v_fma_f64 v[110:111], v[24:25], v[150:151], v[227:228]
	;; [unrolled: 1-line block ×4, first 2 shown]
	v_add_f64 v[114:115], v[78:79], -v[62:63]
	v_fma_f64 v[20:21], v[20:21], v[144:145], -v[213:214]
	v_fma_f64 v[24:25], v[24:25], v[148:149], -v[199:200]
	;; [unrolled: 1-line block ×4, first 2 shown]
	v_add_f64 v[118:119], v[66:67], -v[82:83]
	v_add_f64 v[120:121], v[62:63], -v[78:79]
	v_add_f64 v[134:135], v[58:59], v[54:55]
	v_add_f64 v[140:141], v[80:81], v[76:77]
	;; [unrolled: 1-line block ×8, first 2 shown]
	v_add_f64 v[130:131], v[80:81], -v[58:59]
	v_add_f64 v[132:133], v[76:77], -v[54:55]
	v_add_f64 v[193:194], v[38:39], v[42:43]
	v_add_f64 v[136:137], v[58:59], -v[80:81]
	v_add_f64 v[138:139], v[54:55], -v[76:77]
	v_add_f64 v[142:143], v[10:11], v[58:59]
	v_add_f64 v[148:149], v[90:91], v[86:87]
	;; [unrolled: 1-line block ×6, first 2 shown]
	v_add_f64 v[207:208], v[64:65], -v[68:69]
	v_add_f64 v[225:226], v[98:99], v[100:101]
	v_add_f64 v[219:220], v[84:85], v[102:103]
	v_add_f64 v[209:210], v[88:89], -v[72:73]
	v_add_f64 v[235:236], v[22:23], v[26:27]
	v_add_f64 v[217:218], v[30:31], -v[38:39]
	v_add_f64 v[231:232], v[34:35], -v[42:43]
	v_add_f64 v[237:238], v[14:15], v[18:19]
	v_add_f64 v[245:246], v[6:7], v[38:39]
	;; [unrolled: 1-line block ×3, first 2 shown]
	v_add_f64 v[144:145], v[74:75], -v[90:91]
	v_add_f64 v[229:230], v[104:105], v[108:109]
	v_add_f64 v[112:113], v[112:113], v[114:115]
	v_add_f64 v[114:115], v[98:99], -v[84:85]
	v_add_f64 v[239:240], v[20:21], v[24:25]
	v_add_f64 v[146:147], v[70:71], -v[86:87]
	v_add_f64 v[241:242], v[12:13], v[16:17]
	v_add_f64 v[150:151], v[90:91], -v[74:75]
	v_add_f64 v[118:119], v[118:119], v[120:121]
	v_fma_f64 v[134:135], v[134:135], -0.5, v[10:11]
	v_fma_f64 v[10:11], v[140:141], -0.5, v[10:11]
	;; [unrolled: 1-line block ×4, first 2 shown]
	v_add_f64 v[164:165], v[4:5], v[36:37]
	v_add_f64 v[120:121], v[100:101], -v[102:103]
	v_add_f64 v[154:155], v[86:87], -v[70:71]
	v_add_f64 v[156:157], v[90:91], v[124:125]
	v_add_f64 v[187:188], v[64:65], v[88:89]
	v_add_f64 v[189:190], v[68:69], v[72:73]
	v_fma_f64 v[193:194], v[193:194], -0.5, v[6:7]
	v_fma_f64 v[6:7], v[201:202], -0.5, v[6:7]
	v_add_f64 v[195:196], v[92:93], v[96:97]
	v_add_f64 v[199:200], v[60:61], v[94:95]
	v_add_f64 v[233:234], v[38:39], -v[30:31]
	v_fma_f64 v[201:202], v[211:212], -0.5, v[4:5]
	v_add_f64 v[211:212], v[36:37], -v[28:29]
	v_fma_f64 v[4:5], v[213:214], -0.5, v[4:5]
	s_waitcnt lgkmcnt(0)
	v_add_f64 v[213:214], v[84:85], v[223:224]
	v_add_f64 v[243:244], v[42:43], -v[34:35]
	v_add_f64 v[247:248], v[60:61], -v[92:93]
	v_fma_f64 v[219:220], v[219:220], -0.5, v[223:224]
	v_fma_f64 v[223:224], v[225:226], -0.5, v[223:224]
	;; [unrolled: 1-line block ×3, first 2 shown]
	v_add_f64 v[249:250], v[94:95], -v[96:97]
	v_fma_f64 v[116:117], v[116:117], -0.5, v[126:127]
	v_fma_f64 v[237:238], v[237:238], -0.5, v[2:3]
	;; [unrolled: 1-line block ×6, first 2 shown]
	v_add_f64 v[229:230], v[2:3], v[22:23]
	v_add_f64 v[2:3], v[40:41], -v[32:33]
	v_fma_f64 v[124:125], v[152:153], -0.5, v[124:125]
	v_add_f64 v[152:153], v[92:93], v[176:177]
	v_add_f64 v[221:222], v[106:107], v[221:222]
	v_fma_f64 v[239:240], v[239:240], -0.5, v[0:1]
	v_fma_f64 v[241:242], v[241:242], -0.5, v[0:1]
	v_add_f64 v[0:1], v[0:1], v[20:21]
	v_add_f64 v[130:131], v[130:131], v[132:133]
	v_add_f64 v[132:133], v[84:85], -v[98:99]
	v_add_f64 v[136:137], v[136:137], v[138:139]
	v_add_f64 v[138:139], v[102:103], -v[100:101]
	v_add_f64 v[142:143], v[80:81], v[142:143]
	v_add_f64 v[207:208], v[207:208], v[209:210]
	v_add_f64 v[209:210], v[22:23], -v[14:15]
	v_add_f64 v[217:218], v[217:218], v[231:232]
	v_add_f64 v[231:232], v[26:27], -v[18:19]
	;; [unrolled: 2-line block ×3, first 2 shown]
	v_add_f64 v[128:129], v[82:83], v[128:129]
	v_add_f64 v[144:145], v[144:145], v[146:147]
	v_add_f64 v[146:147], v[14:15], -v[22:23]
	v_add_f64 v[150:151], v[150:151], v[154:155]
	v_add_f64 v[154:155], v[18:19], -v[26:27]
	v_add_f64 v[191:192], v[68:69], -v[64:65]
	v_add_f64 v[215:216], v[64:65], v[178:179]
	v_add_f64 v[148:149], v[92:93], -v[60:61]
	v_add_f64 v[162:163], v[96:97], -v[94:95]
	v_fma_f64 v[187:188], v[187:188], -0.5, v[178:179]
	v_fma_f64 v[178:179], v[189:190], -0.5, v[178:179]
	;; [unrolled: 1-line block ×4, first 2 shown]
	v_add_f64 v[199:200], v[28:29], -v[36:37]
	v_add_f64 v[251:252], v[32:33], -v[40:41]
	;; [unrolled: 1-line block ×3, first 2 shown]
	v_add_f64 v[233:234], v[233:234], v[243:244]
	v_add_f64 v[243:244], v[104:105], -v[106:107]
	v_add_f64 v[247:248], v[247:248], v[249:250]
	v_add_f64 v[249:250], v[108:109], -v[110:111]
	;; [unrolled: 2-line block ×5, first 2 shown]
	v_add_f64 v[0:1], v[12:13], v[0:1]
	v_add_f64 v[156:157], v[74:75], v[156:157]
	v_add_f64 v[58:59], v[58:59], -v[54:55]
	v_add_f64 v[82:83], v[82:83], -v[78:79]
	v_add_f64 v[132:133], v[132:133], v[138:139]
	v_add_f64 v[138:139], v[20:21], -v[12:13]
	v_add_f64 v[76:77], v[142:143], v[76:77]
	v_add_nc_u32_e32 v196, 0x5dc, v182
	v_add_co_u32 v46, vcc_lo, v170, v198
	v_add_f64 v[209:210], v[209:210], v[231:232]
	v_add_f64 v[231:232], v[14:15], -v[18:19]
	v_add_f64 v[14:15], v[14:15], v[229:230]
	v_add_f64 v[229:230], v[98:99], -v[100:101]
	;; [unrolled: 2-line block ×3, first 2 shown]
	v_add_f64 v[12:13], v[78:79], v[128:129]
	v_add_f64 v[146:147], v[146:147], v[154:155]
	v_add_f64 v[154:155], v[24:25], -v[16:17]
	v_add_f64 v[158:159], v[48:49], -v[56:57]
	;; [unrolled: 1-line block ×5, first 2 shown]
	v_lshlrev_b64 v[195:196], 4, v[196:197]
	v_add_f64 v[148:149], v[148:149], v[162:163]
	v_add_f64 v[162:163], v[106:107], -v[104:105]
	v_add_f64 v[199:200], v[199:200], v[251:252]
	v_add_f64 v[251:252], v[110:111], -v[108:109]
	v_add_f64 v[48:49], v[48:49], -v[44:45]
	;; [unrolled: 1-line block ×4, first 2 shown]
	v_add_f64 v[243:244], v[243:244], v[249:250]
	v_add_f64 v[249:250], v[104:105], -v[108:109]
	v_add_f64 v[120:121], v[2:3], v[120:121]
	v_add_f64 v[2:3], v[104:105], v[221:222]
	v_add_f64 v[106:107], v[106:107], -v[110:111]
	v_add_f64 v[44:45], v[185:186], v[44:45]
	v_add_f64 v[94:95], v[94:95], v[152:153]
	v_fma_f64 v[152:153], v[64:65], s[16:17], v[6:7]
	v_fma_f64 v[253:254], v[64:65], s[14:15], v[6:7]
	;; [unrolled: 1-line block ×3, first 2 shown]
	v_add_f64 v[215:216], v[68:69], v[215:216]
	v_add_f64 v[68:69], v[68:69], -v[72:73]
	v_add_f64 v[74:75], v[74:75], -v[70:71]
	v_add_f64 v[70:71], v[70:71], v[156:157]
	v_add_f64 v[66:67], v[66:67], -v[62:63]
	v_add_f64 v[56:57], v[56:57], -v[52:53]
	;; [unrolled: 1-line block ×5, first 2 shown]
	v_fma_f64 v[78:79], v[80:81], s[16:17], v[116:117]
	v_fma_f64 v[116:117], v[80:81], s[14:15], v[116:117]
	;; [unrolled: 1-line block ×4, first 2 shown]
	v_add_f64 v[6:7], v[62:63], v[12:13]
	v_add_f64 v[36:37], v[36:37], -v[40:41]
	v_add_f64 v[104:105], v[138:139], v[154:155]
	v_fma_f64 v[138:139], v[82:83], s[14:15], v[134:135]
	v_fma_f64 v[134:135], v[82:83], s[16:17], v[134:135]
	v_add_f64 v[0:1], v[0:1], v[16:17]
	v_fma_f64 v[16:17], v[213:214], s[14:15], v[225:226]
	v_add_f64 v[245:246], v[30:31], v[245:246]
	v_add_f64 v[164:165], v[28:29], v[164:165]
	v_fma_f64 v[12:13], v[213:214], s[16:17], v[225:226]
	v_add_f64 v[205:206], v[72:73], -v[88:89]
	v_add_f64 v[162:163], v[162:163], v[251:252]
	v_fma_f64 v[154:155], v[48:49], s[16:17], v[126:127]
	v_fma_f64 v[126:127], v[48:49], s[14:15], v[126:127]
	;; [unrolled: 1-line block ×3, first 2 shown]
	v_add_f64 v[38:39], v[38:39], -v[42:43]
	v_add_f64 v[180:181], v[14:15], v[18:19]
	v_add_f64 v[28:29], v[28:29], -v[32:33]
	v_add_f64 v[108:109], v[108:109], v[2:3]
	v_fma_f64 v[2:3], v[92:93], s[14:15], v[4:5]
	v_add_f64 v[4:5], v[76:77], v[54:55]
	v_fma_f64 v[54:55], v[20:21], s[14:15], v[227:228]
	v_fma_f64 v[76:77], v[106:107], s[16:17], v[241:242]
	v_add_f64 v[98:99], v[100:101], v[98:99]
	v_fma_f64 v[18:19], v[60:61], s[14:15], v[201:202]
	v_add_f64 v[72:73], v[72:73], v[215:216]
	v_fma_f64 v[251:252], v[68:69], s[14:15], v[193:194]
	v_fma_f64 v[193:194], v[68:69], s[16:17], v[193:194]
	v_fma_f64 v[185:186], v[74:75], s[14:15], v[140:141]
	v_fma_f64 v[142:143], v[66:67], s[16:17], v[10:11]
	v_fma_f64 v[10:11], v[66:67], s[14:15], v[10:11]
	v_fma_f64 v[156:157], v[56:57], s[14:15], v[124:125]
	v_fma_f64 v[124:125], v[56:57], s[16:17], v[124:125]
	v_fma_f64 v[140:141], v[74:75], s[16:17], v[140:141]
	v_fma_f64 v[221:222], v[90:91], s[16:17], v[8:9]
	v_fma_f64 v[8:9], v[90:91], s[14:15], v[8:9]
	v_fma_f64 v[14:15], v[22:23], s[16:17], v[223:224]
	v_fma_f64 v[78:79], v[58:59], s[10:11], v[78:79]
	v_fma_f64 v[58:59], v[58:59], s[12:13], v[116:117]
	v_fma_f64 v[116:117], v[80:81], s[10:11], v[128:129]
	v_fma_f64 v[80:81], v[80:81], s[12:13], v[122:123]
	v_fma_f64 v[122:123], v[231:232], s[16:17], v[219:220]
	v_fma_f64 v[128:129], v[231:232], s[14:15], v[219:220]
	v_fma_f64 v[219:220], v[22:23], s[14:15], v[223:224]
	v_fma_f64 v[223:224], v[229:230], s[16:17], v[235:236]
	v_fma_f64 v[100:101], v[36:37], s[14:15], v[176:177]
	v_fma_f64 v[201:202], v[60:61], s[16:17], v[201:202]
	v_fma_f64 v[138:139], v[66:67], s[12:13], v[138:139]
	v_fma_f64 v[66:67], v[66:67], s[10:11], v[134:135]
	v_fma_f64 v[134:135], v[229:230], s[14:15], v[235:236]
	v_fma_f64 v[225:226], v[84:85], s[16:17], v[237:238]
	v_fma_f64 v[176:177], v[36:37], s[16:17], v[176:177]
	v_fma_f64 v[62:63], v[213:214], s[12:13], v[62:63]
	v_add_f64 v[30:31], v[30:31], -v[34:35]
	v_add_f64 v[34:35], v[245:246], v[34:35]
	v_add_f64 v[32:33], v[164:165], v[32:33]
	v_fma_f64 v[154:155], v[56:57], s[10:11], v[154:155]
	v_fma_f64 v[126:127], v[56:57], s[12:13], v[126:127]
	scratch_store_b128 off, v[4:7], off     ; 16-byte Folded Spill
	v_add_f64 v[4:5], v[44:45], v[52:53]
	v_fma_f64 v[44:45], v[106:107], s[14:15], v[241:242]
	v_fma_f64 v[52:53], v[249:250], s[16:17], v[239:240]
	v_add_f64 v[6:7], v[86:87], v[70:71]
	v_fma_f64 v[70:71], v[249:250], s[14:15], v[239:240]
	v_fma_f64 v[86:87], v[84:85], s[14:15], v[237:238]
	;; [unrolled: 1-line block ×10, first 2 shown]
	v_add_f64 v[10:11], v[88:89], v[72:73]
	v_fma_f64 v[152:153], v[68:69], s[12:13], v[152:153]
	v_fma_f64 v[235:236], v[68:69], s[10:11], v[253:254]
	;; [unrolled: 1-line block ×13, first 2 shown]
	v_add_f64 v[14:15], v[96:97], v[94:95]
	v_fma_f64 v[96:97], v[22:23], s[12:13], v[128:129]
	v_fma_f64 v[128:129], v[84:85], s[10:11], v[223:224]
	;; [unrolled: 1-line block ×9, first 2 shown]
	v_add_f64 v[158:159], v[158:159], v[160:161]
	v_fma_f64 v[44:45], v[249:250], s[10:11], v[44:45]
	v_fma_f64 v[52:53], v[106:107], s[10:11], v[52:53]
	;; [unrolled: 1-line block ×6, first 2 shown]
	v_add_f64 v[22:23], v[110:111], v[108:109]
	v_add_f64 v[20:21], v[0:1], v[24:25]
	v_fma_f64 v[197:198], v[60:61], s[12:13], v[197:198]
	v_fma_f64 v[62:63], v[162:163], s[4:5], v[62:63]
	v_fma_f64 v[54:55], v[243:244], s[4:5], v[64:65]
	v_add_f64 v[8:9], v[34:35], v[42:43]
	v_add_f64 v[12:13], v[32:33], v[40:41]
	v_fma_f64 v[42:43], v[243:244], s[4:5], v[56:57]
	v_fma_f64 v[215:216], v[30:31], s[16:17], v[187:188]
	;; [unrolled: 1-line block ×8, first 2 shown]
	v_add_f64 v[18:19], v[102:103], v[98:99]
	v_add_f64 v[16:17], v[180:181], v[26:27]
	v_fma_f64 v[28:29], v[130:131], s[4:5], v[66:67]
	v_fma_f64 v[66:67], v[132:133], s[4:5], v[74:75]
	;; [unrolled: 1-line block ×4, first 2 shown]
	v_add_co_ci_u32_e32 v47, vcc_lo, 0, v171, vcc_lo
	v_fma_f64 v[106:107], v[114:115], s[4:5], v[96:97]
	v_add_co_u32 v50, vcc_lo, 0x2000, v46
	s_delay_alu instid0(VALU_DEP_3)
	v_add_co_ci_u32_e32 v51, vcc_lo, 0, v47, vcc_lo
	v_fma_f64 v[102:103], v[114:115], s[4:5], v[92:93]
	v_fma_f64 v[110:111], v[132:133], s[4:5], v[100:101]
	;; [unrolled: 1-line block ×9, first 2 shown]
	v_add_co_u32 v160, vcc_lo, 0x5000, v46
	v_add_co_ci_u32_e32 v161, vcc_lo, 0, v47, vcc_lo
	v_add_f64 v[172:173], v[172:173], v[174:175]
	v_add_co_u32 v174, vcc_lo, 0x8000, v46
	v_add_co_ci_u32_e32 v175, vcc_lo, 0, v47, vcc_lo
	v_add_f64 v[191:192], v[191:192], v[205:206]
	v_add_co_u32 v205, vcc_lo, 0xb000, v46
	v_fma_f64 v[74:75], v[144:145], s[4:5], v[126:127]
	v_fma_f64 v[68:69], v[158:159], s[4:5], v[124:125]
	;; [unrolled: 1-line block ×4, first 2 shown]
	v_add_co_ci_u32_e32 v206, vcc_lo, 0, v47, vcc_lo
	s_clause 0x6
	global_store_b128 v[46:47], v[20:23], off
	global_store_b128 v[50:51], v[60:63], off offset:3808
	global_store_b128 v[160:161], v[52:55], off offset:3520
	;; [unrolled: 1-line block ×4, first 2 shown]
	global_store_b128 v[168:169], v[16:19], off
	global_store_b128 v[166:167], v[64:67], off
	v_add_nc_u32_e32 v16, 0xfa, v255
	v_mul_u32_u24_e32 v17, 0x2ee, v184
	v_add_nc_u32_e32 v203, 0x8ca, v182
	v_add_nc_u32_e32 v182, 0xbb8, v182
	v_add_co_u32 v0, vcc_lo, v170, v195
	s_delay_alu instid0(VALU_DEP_4) | instskip(NEXT) | instid1(VALU_DEP_4)
	v_sub_nc_u32_e32 v18, v16, v17
	v_lshlrev_b64 v[203:204], 4, v[203:204]
	s_delay_alu instid0(VALU_DEP_4)
	v_lshlrev_b64 v[2:3], 4, v[182:183]
	v_fma_f64 v[187:188], v[38:39], s[12:13], v[187:188]
	v_add_co_ci_u32_e32 v1, vcc_lo, v171, v196, vcc_lo
	v_mad_u32_u24 v182, 0xea6, v184, v18
	v_fma_f64 v[215:216], v[38:39], s[10:11], v[215:216]
	v_add_co_u32 v16, vcc_lo, v170, v203
	v_add_co_ci_u32_e32 v17, vcc_lo, v171, v204, vcc_lo
	s_delay_alu instid0(VALU_DEP_4)
	v_lshlrev_b64 v[20:21], 4, v[182:183]
	v_add_co_u32 v2, vcc_lo, v170, v2
	v_add_nc_u32_e32 v22, 0x177, v255
	v_fma_f64 v[34:35], v[118:119], s[4:5], v[116:117]
	v_fma_f64 v[38:39], v[118:119], s[4:5], v[80:81]
	;; [unrolled: 1-line block ×4, first 2 shown]
	v_dual_mov_b32 v19, v183 :: v_dual_add_nc_u32 v18, 0x2ee, v182
	v_fma_f64 v[26:27], v[112:113], s[4:5], v[78:79]
	v_fma_f64 v[114:115], v[247:248], s[4:5], v[164:165]
	;; [unrolled: 1-line block ×3, first 2 shown]
	v_add_co_ci_u32_e32 v3, vcc_lo, v171, v3, vcc_lo
	v_fma_f64 v[122:123], v[148:149], s[4:5], v[213:214]
	v_fma_f64 v[120:121], v[211:212], s[4:5], v[197:198]
	s_clause 0x2
	global_store_b128 v[0:1], v[104:107], off
	global_store_b128 v[16:17], v[100:103], off
	;; [unrolled: 1-line block ×3, first 2 shown]
	v_add_co_u32 v2, vcc_lo, v170, v20
	v_mul_hi_u32 v20, 0x57619f1, v22
	v_lshlrev_b64 v[0:1], 4, v[18:19]
	v_add_co_ci_u32_e32 v3, vcc_lo, v171, v21, vcc_lo
	v_fma_f64 v[98:99], v[207:208], s[4:5], v[178:179]
	v_fma_f64 v[96:97], v[233:234], s[4:5], v[235:236]
	v_add_nc_u32_e32 v16, 0x5dc, v182
	v_add_co_u32 v0, vcc_lo, v170, v0
	v_lshrrev_b32_e32 v20, 4, v20
	v_add_co_ci_u32_e32 v1, vcc_lo, v171, v1, vcc_lo
	v_mov_b32_e32 v17, v183
	s_clause 0x1
	global_store_b128 v[2:3], v[12:15], off
	global_store_b128 v[0:1], v[124:127], off
	v_mul_u32_u24_e32 v14, 0x2ee, v20
	v_add_nc_u32_e32 v18, 0x8ca, v182
	v_lshlrev_b64 v[16:17], 4, v[16:17]
	v_add_nc_u32_e32 v182, 0xbb8, v182
	v_fma_f64 v[72:73], v[158:159], s[4:5], v[90:91]
	v_sub_nc_u32_e32 v14, v22, v14
	v_lshlrev_b64 v[0:1], 4, v[18:19]
	v_fma_f64 v[90:91], v[191:192], s[4:5], v[187:188]
	v_add_co_u32 v2, vcc_lo, v170, v16
	v_lshlrev_b64 v[12:13], 4, v[182:183]
	v_mad_u32_u24 v182, 0xea6, v20, v14
	v_add_co_ci_u32_e32 v3, vcc_lo, v171, v17, vcc_lo
	v_add_co_u32 v0, vcc_lo, v170, v0
	v_add_co_ci_u32_e32 v1, vcc_lo, v171, v1, vcc_lo
	s_delay_alu instid0(VALU_DEP_4)
	v_lshlrev_b64 v[16:17], 4, v[182:183]
	v_fma_f64 v[88:89], v[217:218], s[4:5], v[193:194]
	v_add_co_u32 v12, vcc_lo, v170, v12
	v_add_nc_u32_e32 v18, 0x1f4, v255
	v_fma_f64 v[86:87], v[191:192], s[4:5], v[215:216]
	v_fma_f64 v[84:85], v[217:218], s[4:5], v[227:228]
	v_dual_mov_b32 v15, v183 :: v_dual_add_nc_u32 v14, 0x2ee, v182
	v_fma_f64 v[94:95], v[207:208], s[4:5], v[221:222]
	v_fma_f64 v[92:93], v[233:234], s[4:5], v[152:153]
	v_add_co_ci_u32_e32 v13, vcc_lo, v171, v13, vcc_lo
	s_clause 0x2
	global_store_b128 v[2:3], v[116:119], off
	global_store_b128 v[0:1], v[112:115], off
	;; [unrolled: 1-line block ×3, first 2 shown]
	v_add_co_u32 v2, vcc_lo, v170, v16
	v_mul_hi_u32 v16, 0x57619f1, v18
	v_lshlrev_b64 v[0:1], 4, v[14:15]
	v_add_co_ci_u32_e32 v3, vcc_lo, v171, v17, vcc_lo
	v_fma_f64 v[36:37], v[136:137], s[4:5], v[82:83]
	v_fma_f64 v[82:83], v[150:151], s[4:5], v[48:49]
	v_fma_f64 v[80:81], v[172:173], s[4:5], v[185:186]
	v_add_co_u32 v0, vcc_lo, v170, v0
	v_lshrrev_b32_e32 v16, 4, v16
	v_add_co_ci_u32_e32 v1, vcc_lo, v171, v1, vcc_lo
	v_dual_mov_b32 v13, v183 :: v_dual_add_nc_u32 v12, 0x5dc, v182
	s_clause 0x1
	global_store_b128 v[2:3], v[8:11], off
	global_store_b128 v[0:1], v[96:99], off
	v_mul_u32_u24_e32 v10, 0x2ee, v16
	v_add_nc_u32_e32 v14, 0x8ca, v182
	v_add_nc_u32_e32 v182, 0xbb8, v182
	v_lshlrev_b64 v[12:13], 4, v[12:13]
	v_fma_f64 v[70:71], v[144:145], s[4:5], v[154:155]
	v_sub_nc_u32_e32 v10, v18, v10
	v_lshlrev_b64 v[0:1], 4, v[14:15]
	v_lshlrev_b64 v[8:9], 4, v[182:183]
	v_mov_b32_e32 v11, v183
	v_add_co_u32 v2, vcc_lo, v170, v12
	v_mad_u32_u24 v182, 0xea6, v16, v10
	v_add_co_ci_u32_e32 v3, vcc_lo, v171, v13, vcc_lo
	v_add_co_u32 v0, vcc_lo, v170, v0
	v_add_co_ci_u32_e32 v1, vcc_lo, v171, v1, vcc_lo
	v_add_co_u32 v8, vcc_lo, v170, v8
	v_add_nc_u32_e32 v10, 0x2ee, v182
	v_lshlrev_b64 v[12:13], 4, v[182:183]
	v_add_co_ci_u32_e32 v9, vcc_lo, v171, v9, vcc_lo
	v_add_nc_u32_e32 v14, 0x271, v255
	s_clause 0x2
	global_store_b128 v[2:3], v[88:91], off
	global_store_b128 v[0:1], v[84:87], off
	global_store_b128 v[8:9], v[92:95], off
	v_lshlrev_b64 v[0:1], 4, v[10:11]
	v_add_co_u32 v2, vcc_lo, v170, v12
	v_mul_hi_u32 v12, 0x57619f1, v14
	v_dual_mov_b32 v9, v183 :: v_dual_add_nc_u32 v8, 0x5dc, v182
	v_add_co_ci_u32_e32 v3, vcc_lo, v171, v13, vcc_lo
	v_add_co_u32 v0, vcc_lo, v170, v0
	v_add_nc_u32_e32 v10, 0x8ca, v182
	v_add_co_ci_u32_e32 v1, vcc_lo, v171, v1, vcc_lo
	v_lshlrev_b64 v[8:9], 4, v[8:9]
	v_lshrrev_b32_e32 v12, 4, v12
	s_clause 0x1
	global_store_b128 v[2:3], v[4:7], off
	global_store_b128 v[0:1], v[80:83], off
	v_lshlrev_b64 v[0:1], 4, v[10:11]
	v_add_nc_u32_e32 v182, 0xbb8, v182
	v_fma_f64 v[78:79], v[150:151], s[4:5], v[156:157]
	v_mul_u32_u24_e32 v6, 0x2ee, v12
	v_add_co_u32 v2, vcc_lo, v170, v8
	v_add_co_ci_u32_e32 v3, vcc_lo, v171, v9, vcc_lo
	v_add_co_u32 v0, vcc_lo, v170, v0
	s_delay_alu instid0(VALU_DEP_4)
	v_sub_nc_u32_e32 v6, v14, v6
	v_add_co_ci_u32_e32 v1, vcc_lo, v171, v1, vcc_lo
	s_clause 0x1
	global_store_b128 v[2:3], v[72:75], off
	global_store_b128 v[0:1], v[68:71], off
	v_lshlrev_b64 v[4:5], 4, v[182:183]
	v_mad_u32_u24 v182, 0xea6, v12, v6
	scratch_load_b128 v[10:13], off, off    ; 16-byte Folded Reload
	v_fma_f64 v[76:77], v[172:173], s[4:5], v[140:141]
	v_fma_f64 v[24:25], v[130:131], s[4:5], v[138:139]
	;; [unrolled: 1-line block ×3, first 2 shown]
	v_add_co_u32 v4, vcc_lo, v170, v4
	v_add_co_ci_u32_e32 v5, vcc_lo, v171, v5, vcc_lo
	v_dual_mov_b32 v7, v183 :: v_dual_add_nc_u32 v6, 0x2ee, v182
	v_lshlrev_b64 v[0:1], 4, v[182:183]
	s_delay_alu instid0(VALU_DEP_2) | instskip(SKIP_1) | instid1(VALU_DEP_3)
	v_lshlrev_b64 v[2:3], 4, v[6:7]
	v_add_nc_u32_e32 v6, 0x8ca, v182
	v_add_co_u32 v0, vcc_lo, v170, v0
	s_delay_alu instid0(VALU_DEP_4) | instskip(NEXT) | instid1(VALU_DEP_4)
	v_add_co_ci_u32_e32 v1, vcc_lo, v171, v1, vcc_lo
	v_add_co_u32 v2, vcc_lo, v170, v2
	s_delay_alu instid0(VALU_DEP_4) | instskip(SKIP_4) | instid1(VALU_DEP_2)
	v_lshlrev_b64 v[6:7], 4, v[6:7]
	v_add_co_ci_u32_e32 v3, vcc_lo, v171, v3, vcc_lo
	global_store_b128 v[4:5], v[76:79], off
	v_dual_mov_b32 v5, v183 :: v_dual_add_nc_u32 v4, 0x5dc, v182
	v_add_nc_u32_e32 v182, 0xbb8, v182
	v_lshlrev_b64 v[4:5], 4, v[4:5]
	s_delay_alu instid0(VALU_DEP_2) | instskip(NEXT) | instid1(VALU_DEP_2)
	v_lshlrev_b64 v[8:9], 4, v[182:183]
	v_add_co_u32 v4, vcc_lo, v170, v4
	s_delay_alu instid0(VALU_DEP_3)
	v_add_co_ci_u32_e32 v5, vcc_lo, v171, v5, vcc_lo
	v_add_co_u32 v6, vcc_lo, v170, v6
	v_add_co_ci_u32_e32 v7, vcc_lo, v171, v7, vcc_lo
	v_add_co_u32 v8, vcc_lo, v170, v8
	v_add_co_ci_u32_e32 v9, vcc_lo, v171, v9, vcc_lo
	s_waitcnt vmcnt(0)
	s_clause 0x4
	global_store_b128 v[0:1], v[10:13], off
	global_store_b128 v[2:3], v[36:39], off
	;; [unrolled: 1-line block ×5, first 2 shown]
.LBB0_15:
	s_endpgm
	.section	.rodata,"a",@progbits
	.p2align	6, 0x0
	.amdhsa_kernel fft_rtc_fwd_len3750_factors_3_5_5_10_5_wgs_125_tpt_125_halfLds_dp_op_CI_CI_unitstride_sbrr_dirReg
		.amdhsa_group_segment_fixed_size 0
		.amdhsa_private_segment_fixed_size 20
		.amdhsa_kernarg_size 104
		.amdhsa_user_sgpr_count 15
		.amdhsa_user_sgpr_dispatch_ptr 0
		.amdhsa_user_sgpr_queue_ptr 0
		.amdhsa_user_sgpr_kernarg_segment_ptr 1
		.amdhsa_user_sgpr_dispatch_id 0
		.amdhsa_user_sgpr_private_segment_size 0
		.amdhsa_wavefront_size32 1
		.amdhsa_uses_dynamic_stack 0
		.amdhsa_enable_private_segment 1
		.amdhsa_system_sgpr_workgroup_id_x 1
		.amdhsa_system_sgpr_workgroup_id_y 0
		.amdhsa_system_sgpr_workgroup_id_z 0
		.amdhsa_system_sgpr_workgroup_info 0
		.amdhsa_system_vgpr_workitem_id 0
		.amdhsa_next_free_vgpr 256
		.amdhsa_next_free_sgpr 27
		.amdhsa_reserve_vcc 1
		.amdhsa_float_round_mode_32 0
		.amdhsa_float_round_mode_16_64 0
		.amdhsa_float_denorm_mode_32 3
		.amdhsa_float_denorm_mode_16_64 3
		.amdhsa_dx10_clamp 1
		.amdhsa_ieee_mode 1
		.amdhsa_fp16_overflow 0
		.amdhsa_workgroup_processor_mode 1
		.amdhsa_memory_ordered 1
		.amdhsa_forward_progress 0
		.amdhsa_shared_vgpr_count 0
		.amdhsa_exception_fp_ieee_invalid_op 0
		.amdhsa_exception_fp_denorm_src 0
		.amdhsa_exception_fp_ieee_div_zero 0
		.amdhsa_exception_fp_ieee_overflow 0
		.amdhsa_exception_fp_ieee_underflow 0
		.amdhsa_exception_fp_ieee_inexact 0
		.amdhsa_exception_int_div_zero 0
	.end_amdhsa_kernel
	.text
.Lfunc_end0:
	.size	fft_rtc_fwd_len3750_factors_3_5_5_10_5_wgs_125_tpt_125_halfLds_dp_op_CI_CI_unitstride_sbrr_dirReg, .Lfunc_end0-fft_rtc_fwd_len3750_factors_3_5_5_10_5_wgs_125_tpt_125_halfLds_dp_op_CI_CI_unitstride_sbrr_dirReg
                                        ; -- End function
	.section	.AMDGPU.csdata,"",@progbits
; Kernel info:
; codeLenInByte = 25096
; NumSgprs: 29
; NumVgprs: 256
; ScratchSize: 20
; MemoryBound: 1
; FloatMode: 240
; IeeeMode: 1
; LDSByteSize: 0 bytes/workgroup (compile time only)
; SGPRBlocks: 3
; VGPRBlocks: 31
; NumSGPRsForWavesPerEU: 29
; NumVGPRsForWavesPerEU: 256
; Occupancy: 5
; WaveLimiterHint : 1
; COMPUTE_PGM_RSRC2:SCRATCH_EN: 1
; COMPUTE_PGM_RSRC2:USER_SGPR: 15
; COMPUTE_PGM_RSRC2:TRAP_HANDLER: 0
; COMPUTE_PGM_RSRC2:TGID_X_EN: 1
; COMPUTE_PGM_RSRC2:TGID_Y_EN: 0
; COMPUTE_PGM_RSRC2:TGID_Z_EN: 0
; COMPUTE_PGM_RSRC2:TIDIG_COMP_CNT: 0
	.text
	.p2alignl 7, 3214868480
	.fill 96, 4, 3214868480
	.type	__hip_cuid_7172fa84082d58a8,@object ; @__hip_cuid_7172fa84082d58a8
	.section	.bss,"aw",@nobits
	.globl	__hip_cuid_7172fa84082d58a8
__hip_cuid_7172fa84082d58a8:
	.byte	0                               ; 0x0
	.size	__hip_cuid_7172fa84082d58a8, 1

	.ident	"AMD clang version 19.0.0git (https://github.com/RadeonOpenCompute/llvm-project roc-6.4.0 25133 c7fe45cf4b819c5991fe208aaa96edf142730f1d)"
	.section	".note.GNU-stack","",@progbits
	.addrsig
	.addrsig_sym __hip_cuid_7172fa84082d58a8
	.amdgpu_metadata
---
amdhsa.kernels:
  - .args:
      - .actual_access:  read_only
        .address_space:  global
        .offset:         0
        .size:           8
        .value_kind:     global_buffer
      - .offset:         8
        .size:           8
        .value_kind:     by_value
      - .actual_access:  read_only
        .address_space:  global
        .offset:         16
        .size:           8
        .value_kind:     global_buffer
      - .actual_access:  read_only
        .address_space:  global
        .offset:         24
        .size:           8
        .value_kind:     global_buffer
      - .actual_access:  read_only
        .address_space:  global
        .offset:         32
        .size:           8
        .value_kind:     global_buffer
      - .offset:         40
        .size:           8
        .value_kind:     by_value
      - .actual_access:  read_only
        .address_space:  global
        .offset:         48
        .size:           8
        .value_kind:     global_buffer
      - .actual_access:  read_only
        .address_space:  global
        .offset:         56
        .size:           8
        .value_kind:     global_buffer
      - .offset:         64
        .size:           4
        .value_kind:     by_value
      - .actual_access:  read_only
        .address_space:  global
        .offset:         72
        .size:           8
        .value_kind:     global_buffer
      - .actual_access:  read_only
        .address_space:  global
        .offset:         80
        .size:           8
        .value_kind:     global_buffer
      - .actual_access:  read_only
        .address_space:  global
        .offset:         88
        .size:           8
        .value_kind:     global_buffer
      - .actual_access:  write_only
        .address_space:  global
        .offset:         96
        .size:           8
        .value_kind:     global_buffer
    .group_segment_fixed_size: 0
    .kernarg_segment_align: 8
    .kernarg_segment_size: 104
    .language:       OpenCL C
    .language_version:
      - 2
      - 0
    .max_flat_workgroup_size: 125
    .name:           fft_rtc_fwd_len3750_factors_3_5_5_10_5_wgs_125_tpt_125_halfLds_dp_op_CI_CI_unitstride_sbrr_dirReg
    .private_segment_fixed_size: 20
    .sgpr_count:     29
    .sgpr_spill_count: 0
    .symbol:         fft_rtc_fwd_len3750_factors_3_5_5_10_5_wgs_125_tpt_125_halfLds_dp_op_CI_CI_unitstride_sbrr_dirReg.kd
    .uniform_work_group_size: 1
    .uses_dynamic_stack: false
    .vgpr_count:     256
    .vgpr_spill_count: 4
    .wavefront_size: 32
    .workgroup_processor_mode: 1
amdhsa.target:   amdgcn-amd-amdhsa--gfx1100
amdhsa.version:
  - 1
  - 2
...

	.end_amdgpu_metadata
